;; amdgpu-corpus repo=ROCm/rocFFT kind=compiled arch=gfx1030 opt=O3
	.text
	.amdgcn_target "amdgcn-amd-amdhsa--gfx1030"
	.amdhsa_code_object_version 6
	.protected	bluestein_single_fwd_len3200_dim1_half_op_CI_CI ; -- Begin function bluestein_single_fwd_len3200_dim1_half_op_CI_CI
	.globl	bluestein_single_fwd_len3200_dim1_half_op_CI_CI
	.p2align	8
	.type	bluestein_single_fwd_len3200_dim1_half_op_CI_CI,@function
bluestein_single_fwd_len3200_dim1_half_op_CI_CI: ; @bluestein_single_fwd_len3200_dim1_half_op_CI_CI
; %bb.0:
	s_load_dwordx4 s[16:19], s[4:5], 0x28
	v_mul_u32_u24_e32 v1, 0x19a, v0
	v_mov_b32_e32 v47, 0
	s_mov_b32 s0, exec_lo
	v_lshrrev_b32_e32 v1, 16, v1
	v_add_nc_u32_e32 v46, s6, v1
	s_waitcnt lgkmcnt(0)
	v_cmpx_gt_u64_e64 s[16:17], v[46:47]
	s_cbranch_execz .LBB0_2
; %bb.1:
	s_clause 0x1
	s_load_dwordx4 s[8:11], s[4:5], 0x18
	s_load_dwordx4 s[0:3], s[4:5], 0x0
	v_mul_lo_u16 v1, 0xa0, v1
	s_load_dwordx2 s[4:5], s[4:5], 0x38
	v_sub_nc_u16 v49, v0, v1
	v_and_b32_e32 v80, 0xffff, v49
	v_or_b32_e32 v72, 0x500, v80
	v_or_b32_e32 v66, 0xa00, v80
	v_lshlrev_b32_e32 v84, 2, v80
	s_waitcnt lgkmcnt(0)
	s_load_dwordx4 s[12:15], s[8:9], 0x0
	s_add_u32 s6, s0, 0x3200
	v_lshlrev_b32_e32 v48, 2, v72
	v_lshlrev_b32_e32 v47, 2, v66
	v_add_co_u32 v14, s7, s0, v84
	v_add_co_ci_u32_e64 v15, null, s1, 0, s7
	s_addc_u32 s7, s1, 0
	s_clause 0x2
	global_load_dword v86, v84, s[0:1]
	global_load_dword v77, v48, s[0:1]
	;; [unrolled: 1-line block ×3, first 2 shown]
	v_add_nc_u32_e32 v88, 0xa00, v84
	v_add_nc_u32_e32 v87, 0xe00, v84
	;; [unrolled: 1-line block ×9, first 2 shown]
	s_waitcnt lgkmcnt(0)
	v_mad_u64_u32 v[0:1], null, s14, v46, 0
	v_mad_u64_u32 v[2:3], null, s12, v80, 0
	;; [unrolled: 1-line block ×4, first 2 shown]
	s_mul_i32 s9, s13, 0x500
	s_mul_hi_u32 s14, s12, 0x500
	v_mad_u64_u32 v[8:9], null, s15, v46, v[1:2]
	v_mad_u64_u32 v[9:10], null, s13, v80, v[3:4]
	s_mul_i32 s8, s12, 0x500
	s_add_i32 s9, s14, s9
	s_mul_i32 s14, s13, 0xa00
	v_mad_u64_u32 v[10:11], null, s13, v66, v[7:8]
	v_mov_b32_e32 v1, v8
	v_mad_u64_u32 v[11:12], null, s13, v72, v[5:6]
	v_mov_b32_e32 v3, v9
	s_mulk_i32 s13, 0xd580
	v_lshlrev_b64 v[0:1], 2, v[0:1]
	v_mov_b32_e32 v7, v10
	v_lshlrev_b64 v[2:3], 2, v[2:3]
	v_mov_b32_e32 v5, v11
	v_add_co_u32 v8, vcc_lo, s18, v0
	v_lshlrev_b64 v[6:7], 2, v[6:7]
	v_add_co_ci_u32_e32 v9, vcc_lo, s19, v1, vcc_lo
	v_lshlrev_b64 v[0:1], 2, v[4:5]
	v_add_co_u32 v2, vcc_lo, v8, v2
	v_add_co_ci_u32_e32 v3, vcc_lo, v9, v3, vcc_lo
	v_add_co_u32 v4, vcc_lo, v8, v6
	v_add_co_ci_u32_e32 v5, vcc_lo, v9, v7, vcc_lo
	;; [unrolled: 2-line block ×4, first 2 shown]
	s_clause 0x1
	global_load_dword v16, v[2:3], off
	global_load_dword v17, v[4:5], off
	v_add_co_u32 v2, vcc_lo, v6, s8
	v_add_co_ci_u32_e32 v3, vcc_lo, s9, v7, vcc_lo
	global_load_dword v18, v[0:1], off
	v_add_co_u32 v0, vcc_lo, v2, s8
	v_add_co_ci_u32_e32 v1, vcc_lo, s9, v3, vcc_lo
	v_add_co_u32 v4, vcc_lo, 0x800, v14
	v_add_co_ci_u32_e32 v5, vcc_lo, 0, v15, vcc_lo
	v_mad_u64_u32 v[8:9], null, 0xa00, s12, v[0:1]
	global_load_dword v19, v[6:7], off
	s_clause 0x1
	global_load_dword v85, v84, s[0:1] offset:1280
	global_load_dword v82, v[4:5], off offset:512
	s_clause 0x1
	global_load_dword v20, v[2:3], off
	global_load_dword v21, v[0:1], off
	global_load_dword v79, v[4:5], off offset:1792
	v_add_nc_u32_e32 v9, s14, v9
	v_add_co_u32 v2, vcc_lo, v8, s8
	v_add_co_ci_u32_e32 v3, vcc_lo, s9, v9, vcc_lo
	v_add_co_u32 v0, vcc_lo, v2, s8
	v_add_co_ci_u32_e32 v1, vcc_lo, s9, v3, vcc_lo
	;; [unrolled: 2-line block ×3, first 2 shown]
	v_mad_u64_u32 v[10:11], null, 0xa00, s12, v[0:1]
	v_add_co_u32 v12, vcc_lo, 0x2000, v14
	v_add_co_ci_u32_e32 v13, vcc_lo, 0, v15, vcc_lo
	global_load_dword v22, v[8:9], off
	s_clause 0x2
	global_load_dword v75, v[6:7], off offset:256
	global_load_dword v74, v[6:7], off offset:1536
	global_load_dword v70, v[12:13], off offset:768
	global_load_dword v24, v[0:1], off
	v_add_nc_u32_e32 v11, s14, v11
	global_load_dword v23, v[2:3], off
	v_add_co_u32 v2, vcc_lo, 0x2800, v14
	v_add_co_ci_u32_e32 v3, vcc_lo, 0, v15, vcc_lo
	v_mad_u64_u32 v[0:1], null, 0xffffd580, s12, v[10:11]
	s_sub_i32 s12, s13, s12
	global_load_dword v10, v[10:11], off
	s_clause 0x1
	global_load_dword v65, v84, s[0:1] offset:1920
	global_load_dword v68, v[2:3], off offset:1280
	v_add_nc_u32_e32 v1, s12, v1
	v_add_co_u32 v8, vcc_lo, v0, s8
	v_add_co_ci_u32_e32 v9, vcc_lo, s9, v1, vcc_lo
	global_load_dword v11, v[0:1], off
	v_add_co_u32 v0, vcc_lo, v8, s8
	v_add_co_ci_u32_e32 v1, vcc_lo, s9, v9, vcc_lo
	s_clause 0x1
	global_load_dword v67, v84, s[0:1] offset:640
	global_load_dword v64, v[4:5], off offset:1152
	global_load_dword v25, v[8:9], off
	global_load_dword v26, v[0:1], off
	v_add_co_u32 v0, vcc_lo, v0, s8
	v_add_co_ci_u32_e32 v1, vcc_lo, s9, v1, vcc_lo
	v_add_co_u32 v4, vcc_lo, 0x1000, v14
	v_add_co_ci_u32_e32 v5, vcc_lo, 0, v15, vcc_lo
	global_load_dword v14, v[0:1], off
	v_add_co_u32 v0, vcc_lo, v0, s8
	v_add_co_ci_u32_e32 v1, vcc_lo, s9, v1, vcc_lo
	global_load_dword v63, v[4:5], off offset:384
	v_add_co_u32 v8, vcc_lo, v0, s8
	v_add_co_ci_u32_e32 v9, vcc_lo, s9, v1, vcc_lo
	global_load_dword v62, v[4:5], off offset:1664
	global_load_dword v15, v[0:1], off
	s_clause 0x1
	global_load_dword v61, v[6:7], off offset:896
	global_load_dword v59, v[12:13], off offset:1408
	global_load_dword v6, v[8:9], off
	v_add_co_u32 v0, vcc_lo, v8, s8
	v_add_co_ci_u32_e32 v1, vcc_lo, s9, v9, vcc_lo
	global_load_dword v60, v[12:13], off offset:128
	v_add_co_u32 v4, vcc_lo, v0, s8
	v_add_co_ci_u32_e32 v5, vcc_lo, s9, v1, vcc_lo
	global_load_dword v7, v[0:1], off
	v_add_co_u32 v0, vcc_lo, v4, s8
	v_add_co_ci_u32_e32 v1, vcc_lo, s9, v5, vcc_lo
	global_load_dword v8, v[4:5], off
	;; [unrolled: 3-line block ×3, first 2 shown]
	global_load_dword v1, v[4:5], off
	s_clause 0x1
	global_load_dword v57, v[2:3], off offset:1920
	global_load_dword v58, v[2:3], off offset:640
	s_load_dwordx4 s[8:11], s[10:11], 0x0
	v_cmp_gt_u16_e32 vcc_lo, 0x64, v49
	s_waitcnt vmcnt(36)
	v_lshrrev_b32_e32 v2, 16, v16
	v_mul_f16_sdwa v3, v86, v16 dst_sel:DWORD dst_unused:UNUSED_PAD src0_sel:WORD_1 src1_sel:DWORD
	s_waitcnt vmcnt(35)
	v_lshrrev_b32_e32 v4, 16, v17
	v_mul_f16_sdwa v5, v69, v17 dst_sel:DWORD dst_unused:UNUSED_PAD src0_sel:WORD_1 src1_sel:DWORD
	v_mul_f16_sdwa v13, v86, v2 dst_sel:DWORD dst_unused:UNUSED_PAD src0_sel:WORD_1 src1_sel:DWORD
	s_waitcnt vmcnt(34)
	v_lshrrev_b32_e32 v9, 16, v18
	v_mul_f16_sdwa v12, v77, v18 dst_sel:DWORD dst_unused:UNUSED_PAD src0_sel:WORD_1 src1_sel:DWORD
	v_fma_f16 v2, v86, v2, -v3
	v_mul_f16_sdwa v28, v69, v4 dst_sel:DWORD dst_unused:UNUSED_PAD src0_sel:WORD_1 src1_sel:DWORD
	v_fma_f16 v4, v69, v4, -v5
	v_mul_f16_sdwa v5, v77, v9 dst_sel:DWORD dst_unused:UNUSED_PAD src0_sel:WORD_1 src1_sel:DWORD
	v_fmac_f16_e32 v13, v86, v16
	v_fma_f16 v9, v77, v9, -v12
	v_fmac_f16_e32 v28, v69, v17
	s_waitcnt vmcnt(33)
	v_lshrrev_b32_e32 v3, 16, v19
	s_waitcnt vmcnt(32)
	v_mul_f16_sdwa v27, v85, v19 dst_sel:DWORD dst_unused:UNUSED_PAD src0_sel:WORD_1 src1_sel:DWORD
	v_fmac_f16_e32 v5, v77, v18
	s_waitcnt vmcnt(30)
	v_lshrrev_b32_e32 v16, 16, v20
	s_waitcnt vmcnt(29)
	v_lshrrev_b32_e32 v17, 16, v21
	v_mul_f16_sdwa v12, v85, v3 dst_sel:DWORD dst_unused:UNUSED_PAD src0_sel:WORD_1 src1_sel:DWORD
	v_fma_f16 v3, v85, v3, -v27
	v_mul_f16_sdwa v27, v82, v20 dst_sel:DWORD dst_unused:UNUSED_PAD src0_sel:WORD_1 src1_sel:DWORD
	v_pack_b32_f16 v2, v13, v2
	v_mul_f16_sdwa v13, v82, v16 dst_sel:DWORD dst_unused:UNUSED_PAD src0_sel:WORD_1 src1_sel:DWORD
	v_fmac_f16_e32 v12, v85, v19
	s_waitcnt vmcnt(28)
	v_mul_f16_sdwa v18, v79, v21 dst_sel:DWORD dst_unused:UNUSED_PAD src0_sel:WORD_1 src1_sel:DWORD
	v_pack_b32_f16 v4, v28, v4
	v_pack_b32_f16 v5, v5, v9
	v_mul_f16_sdwa v9, v79, v17 dst_sel:DWORD dst_unused:UNUSED_PAD src0_sel:WORD_1 src1_sel:DWORD
	v_fma_f16 v16, v82, v16, -v27
	v_fmac_f16_e32 v13, v82, v20
	v_pack_b32_f16 v3, v12, v3
	v_fma_f16 v12, v79, v17, -v18
	ds_write_b32 v84, v4 offset:10240
	ds_write_b32 v84, v5 offset:5120
	v_fmac_f16_e32 v9, v79, v21
	v_pack_b32_f16 v4, v13, v16
	ds_write_b32 v84, v3 offset:1280
	ds_write_b32 v84, v4 offset:2560
	v_pack_b32_f16 v3, v9, v12
	s_waitcnt vmcnt(27)
	v_lshrrev_b32_e32 v5, 16, v22
	s_waitcnt vmcnt(26)
	v_mul_f16_sdwa v13, v75, v22 dst_sel:DWORD dst_unused:UNUSED_PAD src0_sel:WORD_1 src1_sel:DWORD
	v_mul_lo_u16 v20, v49, 10
	ds_write_b32 v84, v3 offset:3840
	v_mul_f16_sdwa v4, v75, v5 dst_sel:DWORD dst_unused:UNUSED_PAD src0_sel:WORD_1 src1_sel:DWORD
	v_fma_f16 v5, v75, v5, -v13
	s_waitcnt vmcnt(22)
	v_lshrrev_b32_e32 v9, 16, v23
	v_mul_f16_sdwa v12, v74, v23 dst_sel:DWORD dst_unused:UNUSED_PAD src0_sel:WORD_1 src1_sel:DWORD
	v_lshrrev_b32_e32 v3, 16, v24
	v_fmac_f16_e32 v4, v75, v22
	v_mov_b32_e32 v22, 2
	v_mul_f16_sdwa v13, v74, v9 dst_sel:DWORD dst_unused:UNUSED_PAD src0_sel:WORD_1 src1_sel:DWORD
	v_fma_f16 v9, v74, v9, -v12
	v_mul_f16_sdwa v12, v70, v24 dst_sel:DWORD dst_unused:UNUSED_PAD src0_sel:WORD_1 src1_sel:DWORD
	v_mul_f16_sdwa v16, v70, v3 dst_sel:DWORD dst_unused:UNUSED_PAD src0_sel:WORD_1 src1_sel:DWORD
	v_pack_b32_f16 v4, v4, v5
	s_waitcnt vmcnt(21)
	v_lshrrev_b32_e32 v5, 16, v10
	v_fmac_f16_e32 v13, v74, v23
	v_fma_f16 v3, v70, v3, -v12
	v_fmac_f16_e32 v16, v70, v24
	s_waitcnt vmcnt(19)
	v_mul_f16_sdwa v12, v68, v10 dst_sel:DWORD dst_unused:UNUSED_PAD src0_sel:WORD_1 src1_sel:DWORD
	v_mul_f16_sdwa v17, v68, v5 dst_sel:DWORD dst_unused:UNUSED_PAD src0_sel:WORD_1 src1_sel:DWORD
	ds_write_b32 v84, v4 offset:6400
	v_pack_b32_f16 v4, v13, v9
	v_pack_b32_f16 v3, v16, v3
	v_fma_f16 v5, v68, v5, -v12
	v_fmac_f16_e32 v17, v68, v10
	s_waitcnt vmcnt(18)
	v_lshrrev_b32_e32 v9, 16, v11
	ds_write_b32 v84, v4 offset:7680
	s_waitcnt vmcnt(17)
	v_mul_f16_sdwa v4, v67, v11 dst_sel:DWORD dst_unused:UNUSED_PAD src0_sel:WORD_1 src1_sel:DWORD
	ds_write_b32 v84, v3 offset:8960
	v_pack_b32_f16 v3, v17, v5
	v_mul_f16_sdwa v5, v67, v9 dst_sel:DWORD dst_unused:UNUSED_PAD src0_sel:WORD_1 src1_sel:DWORD
	s_waitcnt vmcnt(15)
	v_lshrrev_b32_e32 v10, 16, v25
	v_fma_f16 v4, v67, v9, -v4
	v_mul_f16_sdwa v9, v65, v25 dst_sel:DWORD dst_unused:UNUSED_PAD src0_sel:WORD_1 src1_sel:DWORD
	ds_write_b32 v84, v3 offset:11520
	v_fmac_f16_e32 v5, v67, v11
	v_mul_f16_sdwa v3, v65, v10 dst_sel:DWORD dst_unused:UNUSED_PAD src0_sel:WORD_1 src1_sel:DWORD
	s_waitcnt vmcnt(14)
	v_lshrrev_b32_e32 v11, 16, v26
	v_mul_f16_sdwa v12, v64, v26 dst_sel:DWORD dst_unused:UNUSED_PAD src0_sel:WORD_1 src1_sel:DWORD
	v_fma_f16 v9, v65, v10, -v9
	v_pack_b32_f16 v4, v5, v4
	v_fmac_f16_e32 v3, v65, v25
	v_mul_f16_sdwa v5, v64, v11 dst_sel:DWORD dst_unused:UNUSED_PAD src0_sel:WORD_1 src1_sel:DWORD
	v_fma_f16 v10, v64, v11, -v12
	s_waitcnt vmcnt(13)
	v_lshrrev_b32_e32 v11, 16, v14
	s_waitcnt vmcnt(12)
	v_mul_f16_sdwa v12, v63, v14 dst_sel:DWORD dst_unused:UNUSED_PAD src0_sel:WORD_1 src1_sel:DWORD
	ds_write2_b32 v84, v2, v4 offset1:160
	v_pack_b32_f16 v2, v3, v9
	v_fmac_f16_e32 v5, v64, v26
	v_mul_f16_sdwa v3, v63, v11 dst_sel:DWORD dst_unused:UNUSED_PAD src0_sel:WORD_1 src1_sel:DWORD
	s_waitcnt vmcnt(10)
	v_lshrrev_b32_e32 v9, 16, v15
	v_fma_f16 v4, v63, v11, -v12
	v_mul_f16_sdwa v11, v62, v15 dst_sel:DWORD dst_unused:UNUSED_PAD src0_sel:WORD_1 src1_sel:DWORD
	ds_write_b32 v84, v2 offset:1920
	v_pack_b32_f16 v2, v5, v10
	v_fmac_f16_e32 v3, v63, v14
	v_mul_f16_sdwa v5, v62, v9 dst_sel:DWORD dst_unused:UNUSED_PAD src0_sel:WORD_1 src1_sel:DWORD
	v_fma_f16 v9, v62, v9, -v11
	s_waitcnt vmcnt(7)
	v_lshrrev_b32_e32 v10, 16, v6
	v_mul_f16_sdwa v11, v61, v6 dst_sel:DWORD dst_unused:UNUSED_PAD src0_sel:WORD_1 src1_sel:DWORD
	ds_write_b32 v84, v2 offset:3200
	v_pack_b32_f16 v2, v3, v4
	v_fmac_f16_e32 v5, v62, v15
	v_mul_f16_sdwa v3, v61, v10 dst_sel:DWORD dst_unused:UNUSED_PAD src0_sel:WORD_1 src1_sel:DWORD
	v_fma_f16 v4, v61, v10, -v11
	s_waitcnt vmcnt(5)
	v_lshrrev_b32_e32 v10, 16, v7
	v_mul_f16_sdwa v11, v60, v7 dst_sel:DWORD dst_unused:UNUSED_PAD src0_sel:WORD_1 src1_sel:DWORD
	ds_write_b32 v84, v2 offset:4480
	v_pack_b32_f16 v2, v5, v9
	s_waitcnt vmcnt(4)
	v_lshrrev_b32_e32 v9, 16, v8
	v_mul_f16_sdwa v5, v60, v10 dst_sel:DWORD dst_unused:UNUSED_PAD src0_sel:WORD_1 src1_sel:DWORD
	v_fmac_f16_e32 v3, v61, v6
	v_fma_f16 v6, v60, v10, -v11
	v_mul_f16_sdwa v10, v59, v8 dst_sel:DWORD dst_unused:UNUSED_PAD src0_sel:WORD_1 src1_sel:DWORD
	ds_write_b32 v84, v2 offset:5760
	s_waitcnt vmcnt(3)
	v_lshrrev_b32_e32 v2, 16, v0
	s_waitcnt vmcnt(2)
	v_lshrrev_b32_e32 v11, 16, v1
	v_fmac_f16_e32 v5, v60, v7
	v_mul_f16_sdwa v7, v59, v9 dst_sel:DWORD dst_unused:UNUSED_PAD src0_sel:WORD_1 src1_sel:DWORD
	v_fma_f16 v9, v59, v9, -v10
	s_waitcnt vmcnt(0)
	v_mul_f16_sdwa v10, v58, v0 dst_sel:DWORD dst_unused:UNUSED_PAD src0_sel:WORD_1 src1_sel:DWORD
	v_mul_f16_sdwa v12, v58, v2 dst_sel:DWORD dst_unused:UNUSED_PAD src0_sel:WORD_1 src1_sel:DWORD
	;; [unrolled: 1-line block ×4, first 2 shown]
	v_fmac_f16_e32 v7, v59, v8
	v_fma_f16 v2, v58, v2, -v10
	v_fmac_f16_e32 v12, v58, v0
	v_fma_f16 v0, v57, v11, -v13
	v_fmac_f16_e32 v14, v57, v1
	v_pack_b32_f16 v1, v3, v4
	v_pack_b32_f16 v3, v5, v6
	v_pack_b32_f16 v4, v7, v9
	v_pack_b32_f16 v2, v12, v2
	v_pack_b32_f16 v0, v14, v0
	ds_write_b32 v84, v1 offset:7040
	ds_write_b32 v84, v3 offset:8320
	;; [unrolled: 1-line block ×5, first 2 shown]
	s_waitcnt lgkmcnt(0)
	s_barrier
	buffer_gl0_inv
	ds_read2_b32 v[8:9], v88 offset1:160
	ds_read2_b32 v[2:3], v78 offset1:160
	;; [unrolled: 1-line block ×5, first 2 shown]
	ds_read2_b32 v[10:11], v87 offset0:64 offset1:224
	ds_read2_b32 v[12:13], v76 offset0:64 offset1:224
	;; [unrolled: 1-line block ×5, first 2 shown]
	v_lshlrev_b32_sdwa v91, v22, v20 dst_sel:DWORD dst_unused:UNUSED_PAD src0_sel:DWORD src1_sel:WORD_0
	s_waitcnt lgkmcnt(0)
	s_barrier
	buffer_gl0_inv
	v_sub_f16_e32 v20, v2, v0
	v_sub_f16_e32 v21, v6, v8
	v_add_f16_sdwa v23, v6, v2 dst_sel:DWORD dst_unused:UNUSED_PAD src0_sel:WORD_1 src1_sel:WORD_1
	v_lshrrev_b32_e32 v24, 16, v4
	v_add_f16_sdwa v25, v8, v0 dst_sel:DWORD dst_unused:UNUSED_PAD src0_sel:WORD_1 src1_sel:WORD_1
	v_sub_f16_sdwa v26, v6, v8 dst_sel:DWORD dst_unused:UNUSED_PAD src0_sel:WORD_1 src1_sel:WORD_1
	v_sub_f16_sdwa v27, v2, v0 dst_sel:DWORD dst_unused:UNUSED_PAD src0_sel:WORD_1 src1_sel:WORD_1
	v_sub_f16_e32 v28, v12, v14
	v_sub_f16_e32 v29, v16, v10
	v_add_f16_sdwa v30, v16, v12 dst_sel:DWORD dst_unused:UNUSED_PAD src0_sel:WORD_1 src1_sel:WORD_1
	v_lshrrev_b32_e32 v31, 16, v18
	v_add_f16_sdwa v32, v10, v14 dst_sel:DWORD dst_unused:UNUSED_PAD src0_sel:WORD_1 src1_sel:WORD_1
	v_add_f16_e32 v40, v10, v14
	v_add_f16_e32 v90, v16, v12
	v_sub_f16_sdwa v33, v16, v10 dst_sel:DWORD dst_unused:UNUSED_PAD src0_sel:WORD_1 src1_sel:WORD_1
	v_sub_f16_sdwa v34, v12, v14 dst_sel:DWORD dst_unused:UNUSED_PAD src0_sel:WORD_1 src1_sel:WORD_1
	v_add_f16_e32 v35, v8, v0
	v_sub_f16_sdwa v37, v8, v0 dst_sel:DWORD dst_unused:UNUSED_PAD src0_sel:WORD_1 src1_sel:WORD_1
	v_sub_f16_e32 v39, v8, v0
	v_sub_f16_sdwa v41, v16, v12 dst_sel:DWORD dst_unused:UNUSED_PAD src0_sel:WORD_1 src1_sel:WORD_1
	v_sub_f16_sdwa v42, v10, v14 dst_sel:DWORD dst_unused:UNUSED_PAD src0_sel:WORD_1 src1_sel:WORD_1
	v_sub_f16_e32 v43, v16, v12
	v_sub_f16_e32 v44, v10, v14
	;; [unrolled: 1-line block ×4, first 2 shown]
	v_sub_f16_sdwa v51, v8, v6 dst_sel:DWORD dst_unused:UNUSED_PAD src0_sel:WORD_1 src1_sel:WORD_1
	v_sub_f16_sdwa v52, v0, v2 dst_sel:DWORD dst_unused:UNUSED_PAD src0_sel:WORD_1 src1_sel:WORD_1
	v_sub_f16_e32 v53, v14, v12
	v_sub_f16_e32 v54, v10, v16
	v_sub_f16_sdwa v55, v10, v16 dst_sel:DWORD dst_unused:UNUSED_PAD src0_sel:WORD_1 src1_sel:WORD_1
	v_sub_f16_sdwa v56, v14, v12 dst_sel:DWORD dst_unused:UNUSED_PAD src0_sel:WORD_1 src1_sel:WORD_1
	v_add_f16_e32 v92, v6, v2
	v_pk_add_f16 v8, v4, v8
	v_pk_add_f16 v10, v18, v10
	;; [unrolled: 1-line block ×3, first 2 shown]
	v_sub_f16_e32 v96, v9, v7
	v_sub_f16_e32 v97, v7, v9
	v_add_f16_sdwa v98, v7, v3 dst_sel:DWORD dst_unused:UNUSED_PAD src0_sel:WORD_1 src1_sel:WORD_1
	v_sub_f16_sdwa v100, v9, v7 dst_sel:DWORD dst_unused:UNUSED_PAD src0_sel:WORD_1 src1_sel:WORD_1
	v_sub_f16_sdwa v101, v7, v9 dst_sel:DWORD dst_unused:UNUSED_PAD src0_sel:WORD_1 src1_sel:WORD_1
	;; [unrolled: 1-line block ×3, first 2 shown]
	v_add_f16_e32 v103, v9, v1
	v_sub_f16_e32 v104, v9, v1
	v_add_f16_sdwa v9, v9, v1 dst_sel:DWORD dst_unused:UNUSED_PAD src0_sel:WORD_1 src1_sel:WORD_1
	v_pk_add_f16 v109, v19, v11
	v_sub_f16_e32 v112, v11, v17
	v_sub_f16_e32 v113, v17, v11
	v_add_f16_sdwa v114, v17, v13 dst_sel:DWORD dst_unused:UNUSED_PAD src0_sel:WORD_1 src1_sel:WORD_1
	v_sub_f16_sdwa v116, v11, v17 dst_sel:DWORD dst_unused:UNUSED_PAD src0_sel:WORD_1 src1_sel:WORD_1
	v_sub_f16_sdwa v117, v17, v11 dst_sel:DWORD dst_unused:UNUSED_PAD src0_sel:WORD_1 src1_sel:WORD_1
	;; [unrolled: 1-line block ×3, first 2 shown]
	v_add_f16_e32 v119, v11, v15
	v_sub_f16_e32 v120, v11, v15
	v_add_f16_sdwa v11, v11, v15 dst_sel:DWORD dst_unused:UNUSED_PAD src0_sel:WORD_1 src1_sel:WORD_1
	v_lshrrev_b32_e32 v125, 16, v5
	v_lshrrev_b32_e32 v126, 16, v19
	v_add_f16_e32 v20, v21, v20
	v_fma_f16 v21, -0.5, v23, v24
	v_fmac_f16_e32 v24, -0.5, v25
	v_add_f16_e32 v23, v26, v27
	v_add_f16_e32 v25, v29, v28
	v_fma_f16 v26, -0.5, v30, v31
	v_fmac_f16_e32 v31, -0.5, v32
	v_fma_f16 v29, -0.5, v40, v18
	v_fma_f16 v18, -0.5, v90, v18
	v_sub_f16_sdwa v36, v6, v2 dst_sel:DWORD dst_unused:UNUSED_PAD src0_sel:WORD_1 src1_sel:WORD_1
	v_sub_f16_e32 v38, v6, v2
	v_add_f16_e32 v94, v7, v3
	v_sub_f16_e32 v99, v7, v3
	v_sub_f16_sdwa v111, v17, v13 dst_sel:DWORD dst_unused:UNUSED_PAD src0_sel:WORD_1 src1_sel:WORD_1
	v_sub_f16_e32 v115, v17, v13
	v_add_f16_e32 v27, v33, v34
	v_fma_f16 v28, -0.5, v35, v4
	v_add_f16_e32 v30, v50, v45
	v_add_f16_e32 v32, v51, v52
	;; [unrolled: 1-line block ×4, first 2 shown]
	v_fma_f16 v35, -0.5, v92, v4
	v_pk_add_f16 v4, v8, v6
	v_pk_add_f16 v6, v10, v16
	;; [unrolled: 1-line block ×3, first 2 shown]
	v_fma_f16 v10, -0.5, v119, v19
	v_fma_f16 v45, -0.5, v98, v125
	v_fmac_f16_e32 v125, -0.5, v9
	v_fma_f16 v51, -0.5, v114, v126
	v_fmac_f16_e32 v126, -0.5, v11
	v_fmamk_f16 v54, v41, 0xbb9c, v29
	v_fmac_f16_e32 v29, 0x3b9c, v41
	v_fmamk_f16 v55, v43, 0x3b9c, v31
	v_fmac_f16_e32 v31, 0xbb9c, v43
	v_fmamk_f16 v56, v42, 0x3b9c, v18
	v_fmamk_f16 v90, v44, 0xbb9c, v26
	v_fmac_f16_e32 v18, 0xbb9c, v42
	v_fmac_f16_e32 v26, 0x3b9c, v44
	v_sub_f16_sdwa v95, v7, v3 dst_sel:DWORD dst_unused:UNUSED_PAD src0_sel:WORD_1 src1_sel:WORD_1
	v_sub_f16_sdwa v108, v3, v1 dst_sel:DWORD dst_unused:UNUSED_PAD src0_sel:WORD_1 src1_sel:WORD_1
	v_add_f16_e32 v110, v17, v13
	v_sub_f16_e32 v121, v15, v13
	v_sub_f16_e32 v122, v13, v15
	v_sub_f16_sdwa v123, v15, v13 dst_sel:DWORD dst_unused:UNUSED_PAD src0_sel:WORD_1 src1_sel:WORD_1
	v_sub_f16_sdwa v124, v13, v15 dst_sel:DWORD dst_unused:UNUSED_PAD src0_sel:WORD_1 src1_sel:WORD_1
	v_pk_add_f16 v7, v93, v7
	v_fma_f16 v16, -0.5, v94, v5
	v_fma_f16 v17, -0.5, v103, v5
	v_pk_add_f16 v2, v4, v2
	v_pk_add_f16 v4, v6, v12
	;; [unrolled: 1-line block ×3, first 2 shown]
	v_fmamk_f16 v13, v99, 0x3b9c, v125
	v_fmac_f16_e32 v125, 0xbb9c, v99
	v_fmamk_f16 v6, v111, 0xbb9c, v10
	v_fmamk_f16 v8, v115, 0x3b9c, v126
	v_fmac_f16_e32 v126, 0xbb9c, v115
	v_fmac_f16_e32 v54, 0x38b4, v42
	;; [unrolled: 1-line block ×6, first 2 shown]
	v_fmamk_f16 v52, v36, 0xbb9c, v28
	v_fmac_f16_e32 v28, 0x3b9c, v36
	v_fmac_f16_e32 v18, 0xb8b4, v41
	;; [unrolled: 1-line block ×3, first 2 shown]
	v_sub_f16_e32 v105, v1, v3
	v_sub_f16_e32 v106, v3, v1
	v_sub_f16_sdwa v107, v1, v3 dst_sel:DWORD dst_unused:UNUSED_PAD src0_sel:WORD_1 src1_sel:WORD_1
	v_add_f16_e32 v9, v101, v108
	v_add_f16_e32 v50, v113, v122
	;; [unrolled: 1-line block ×3, first 2 shown]
	v_fmamk_f16 v53, v38, 0x3b9c, v24
	v_fmac_f16_e32 v24, 0xbb9c, v38
	v_fmamk_f16 v92, v37, 0x3b9c, v35
	v_fmamk_f16 v93, v39, 0xbb9c, v21
	v_fmac_f16_e32 v35, 0xbb9c, v37
	v_pk_add_f16 v3, v7, v3
	v_fmac_f16_e32 v10, 0x3b9c, v111
	v_fmac_f16_e32 v90, 0xb8b4, v43
	v_pk_add_f16 v0, v2, v0
	v_pk_add_f16 v7, v4, v14
	v_fmac_f16_e32 v13, 0xb8b4, v104
	v_fmac_f16_e32 v125, 0x38b4, v104
	;; [unrolled: 1-line block ×20, first 2 shown]
	v_pk_add_f16 v4, v3, v1
	v_fmac_f16_e32 v10, 0xb8b4, v118
	v_fmac_f16_e32 v90, 0x34f2, v34
	v_pk_add_f16 v2, v0, v7
	v_pk_add_f16 v7, v0, v7 neg_lo:[0,1] neg_hi:[0,1]
	v_fmac_f16_e32 v13, 0x34f2, v9
	v_fmac_f16_e32 v125, 0x34f2, v9
	;; [unrolled: 1-line block ×5, first 2 shown]
	v_mul_f16_e32 v0, 0xb4f2, v29
	v_mul_f16_e32 v1, 0xb4f2, v31
	;; [unrolled: 1-line block ×6, first 2 shown]
	v_fmac_f16_e32 v21, 0x38b4, v38
	v_pk_add_f16 v5, v5, v15
	v_fmac_f16_e32 v52, 0x34f2, v20
	v_fmac_f16_e32 v28, 0x34f2, v20
	v_mul_f16_e32 v15, 0xba79, v18
	v_mul_f16_e32 v20, 0xba79, v26
	v_fmac_f16_e32 v53, 0x34f2, v23
	v_fmac_f16_e32 v24, 0x34f2, v23
	;; [unrolled: 1-line block ×6, first 2 shown]
	v_mul_f16_e32 v25, 0xb4f2, v126
	v_mul_f16_e32 v27, 0x3b9c, v8
	;; [unrolled: 1-line block ×3, first 2 shown]
	v_fmac_f16_e32 v0, 0x3b9c, v31
	v_fmac_f16_e32 v1, 0xbb9c, v29
	;; [unrolled: 1-line block ×9, first 2 shown]
	v_fmamk_f16 v12, v95, 0xbb9c, v17
	v_mul_f16_e32 v23, 0xb4f2, v10
	v_fmac_f16_e32 v25, 0xbb9c, v10
	v_fmac_f16_e32 v27, 0x34f2, v6
	;; [unrolled: 1-line block ×3, first 2 shown]
	v_add_f16_e32 v6, v28, v0
	v_add_f16_e32 v8, v24, v1
	;; [unrolled: 1-line block ×6, first 2 shown]
	v_sub_f16_e32 v11, v92, v11
	v_sub_f16_e32 v31, v52, v3
	;; [unrolled: 1-line block ×4, first 2 shown]
	v_add_f16_e32 v33, v35, v15
	v_add_f16_e32 v34, v21, v20
	;; [unrolled: 1-line block ×3, first 2 shown]
	v_fmac_f16_e32 v12, 0x38b4, v102
	v_pack_b32_f16 v9, v6, v8
	v_pack_b32_f16 v8, v10, v18
	;; [unrolled: 1-line block ×6, first 2 shown]
	v_fmac_f16_e32 v12, 0x34f2, v40
	ds_write2_b64 v91, v[2:3], v[8:9] offset1:1
	ds_write2_b64 v91, v[6:7], v[10:11] offset0:2 offset1:3
	v_fma_f16 v6, -0.5, v110, v19
	v_sub_f16_e32 v15, v35, v15
	v_sub_f16_e32 v20, v21, v20
	v_add_f16_e32 v14, v12, v27
	v_add_f16_e32 v18, v13, v30
	v_fmamk_f16 v11, v118, 0x3b9c, v6
	v_fmac_f16_e32 v6, 0xbb9c, v118
	v_sub_f16_e32 v21, v24, v1
	v_pack_b32_f16 v1, v15, v20
	v_pack_b32_f16 v2, v14, v18
	v_fmamk_f16 v7, v102, 0x3b9c, v16
	v_fmac_f16_e32 v16, 0xbb9c, v102
	v_add_f16_e32 v14, v112, v121
	v_fmamk_f16 v15, v120, 0xbb9c, v51
	v_fmac_f16_e32 v51, 0x3b9c, v120
	v_fmac_f16_e32 v11, 0x38b4, v111
	;; [unrolled: 1-line block ×4, first 2 shown]
	v_add_f16_e32 v8, v96, v105
	v_fmac_f16_e32 v7, 0x38b4, v95
	v_fmac_f16_e32 v16, 0xb8b4, v95
	v_add_f16_e32 v18, v116, v123
	v_fmac_f16_e32 v15, 0xb8b4, v115
	v_fmac_f16_e32 v51, 0x38b4, v115
	;; [unrolled: 1-line block ×5, first 2 shown]
	v_fmamk_f16 v9, v104, 0xbb9c, v45
	v_fmac_f16_e32 v45, 0x3b9c, v104
	v_fmac_f16_e32 v7, 0x34f2, v8
	;; [unrolled: 1-line block ×5, first 2 shown]
	v_mul_f16_e32 v8, 0x3a79, v11
	v_mul_f16_e32 v14, 0xba79, v6
	v_fmac_f16_e32 v17, 0x34f2, v40
	v_fmac_f16_e32 v23, 0x3b9c, v126
	v_add_f16_e32 v10, v100, v107
	v_fmac_f16_e32 v9, 0xb8b4, v99
	v_fmac_f16_e32 v45, 0x38b4, v99
	v_mul_f16_e32 v11, 0xb8b4, v11
	v_mul_f16_e32 v18, 0xba79, v51
	v_fmac_f16_e32 v8, 0x38b4, v15
	v_fmac_f16_e32 v14, 0x38b4, v51
	v_add_f16_e32 v24, v17, v23
	v_fmac_f16_e32 v9, 0x34f2, v10
	v_fmac_f16_e32 v45, 0x34f2, v10
	;; [unrolled: 1-line block ×4, first 2 shown]
	v_add_f16_e32 v15, v7, v8
	v_sub_f16_e32 v10, v7, v8
	v_sub_f16_e32 v6, v17, v23
	v_add_f16_e32 v7, v16, v14
	v_and_b32_e32 v17, 0xff, v49
	v_sub_f16_e32 v8, v16, v14
	v_add_co_u32 v16, null, 0xa0, v80
	v_mov_b32_e32 v14, 0xcccd
	v_mul_lo_u16 v17, 0xcd, v17
	v_add_f16_e32 v20, v9, v11
	v_sub_f16_e32 v9, v9, v11
	v_sub_f16_e32 v11, v13, v30
	v_mul_u32_u24_sdwa v13, v16, v14 dst_sel:DWORD dst_unused:UNUSED_PAD src0_sel:WORD_0 src1_sel:DWORD
	v_sub_f16_e32 v0, v28, v0
	v_add_f16_e32 v28, v125, v25
	v_lshrrev_b16 v19, 11, v17
	v_sub_f16_e32 v23, v45, v18
	v_lshrrev_b32_e32 v17, 19, v13
	v_pack_b32_f16 v0, v0, v21
	v_pack_b32_f16 v3, v24, v28
	v_add_f16_e32 v21, v45, v18
	v_mul_u32_u24_e32 v18, 10, v16
	v_mul_lo_u16 v24, v17, 10
	v_mul_lo_u16 v13, v19, 10
	v_sub_f16_e32 v12, v12, v27
	v_pack_b32_f16 v9, v10, v9
	v_lshlrev_b32_e32 v96, 2, v18
	v_sub_nc_u16 v18, v16, v24
	v_sub_nc_u16 v13, v49, v13
	v_pack_b32_f16 v10, v12, v11
	v_pk_add_f16 v11, v4, v5
	v_pk_add_f16 v5, v4, v5 neg_lo:[0,1] neg_hi:[0,1]
	v_pack_b32_f16 v4, v7, v21
	v_pack_b32_f16 v7, v8, v23
	v_mul_lo_u16 v8, v18, 36
	v_and_b32_e32 v37, 0xff, v13
	ds_write_b64 v91, v[0:1] offset:32
	v_sub_f16_e32 v14, v125, v25
	v_pack_b32_f16 v12, v15, v20
	v_and_b32_e32 v0, 0xffff, v8
	v_mad_u64_u32 v[20:21], null, v37, 36, s[2:3]
	v_pack_b32_f16 v6, v6, v14
	ds_write2_b64 v96, v[11:12], v[2:3] offset1:1
	ds_write2_b64 v96, v[4:5], v[9:10] offset0:2 offset1:3
	ds_write_b64 v96, v[6:7] offset:32
	v_add_co_u32 v23, s0, s2, v0
	v_add_co_ci_u32_e64 v24, null, s3, 0, s0
	s_waitcnt lgkmcnt(0)
	s_barrier
	buffer_gl0_inv
	s_clause 0x5
	global_load_dwordx4 v[8:11], v[20:21], off
	global_load_dwordx4 v[4:7], v[23:24], off
	global_load_dwordx4 v[0:3], v[20:21], off offset:16
	global_load_dwordx4 v[12:15], v[23:24], off offset:16
	global_load_dword v98, v[20:21], off offset:32
	global_load_dword v92, v[23:24], off offset:32
	v_mov_b32_e32 v31, 0x64
	ds_read2_b32 v[20:21], v89 offset0:64 offset1:224
	ds_read2_b32 v[23:24], v88 offset1:160
	ds_read2_b32 v[25:26], v87 offset0:64 offset1:224
	ds_read2_b32 v[27:28], v81 offset1:160
	ds_read2_b32 v[29:30], v83 offset0:64 offset1:224
	v_mad_u16 v17, 0x64, v17, v18
	v_mul_u32_u24_sdwa v19, v19, v31 dst_sel:DWORD dst_unused:UNUSED_PAD src0_sel:WORD_0 src1_sel:DWORD
	ds_read2_b32 v[31:32], v78 offset1:160
	ds_read2_b32 v[33:34], v76 offset0:64 offset1:224
	ds_read2_b32 v[35:36], v73 offset1:160
	v_add_lshl_u32 v90, v19, v37, 2
	ds_read2_b32 v[37:38], v71 offset0:64 offset1:224
	ds_read2_b32 v[39:40], v84 offset1:160
	s_waitcnt vmcnt(0) lgkmcnt(0)
	s_barrier
	buffer_gl0_inv
	v_lshrrev_b32_e32 v41, 16, v20
	v_lshrrev_b32_e32 v43, 16, v23
	;; [unrolled: 1-line block ×20, first 2 shown]
	v_mul_f16_sdwa v102, v41, v8 dst_sel:DWORD dst_unused:UNUSED_PAD src0_sel:DWORD src1_sel:WORD_1
	v_mul_f16_sdwa v104, v20, v8 dst_sel:DWORD dst_unused:UNUSED_PAD src0_sel:DWORD src1_sel:WORD_1
	;; [unrolled: 1-line block ×35, first 2 shown]
	v_fma_f16 v102, v20, v8, -v102
	v_fma_f16 v20, v23, v9, -v106
	;; [unrolled: 1-line block ×17, first 2 shown]
	v_fmac_f16_e32 v104, v41, v8
	v_fmac_f16_e32 v108, v43, v9
	;; [unrolled: 1-line block ×9, first 2 shown]
	v_mul_f16_sdwa v105, v21, v4 dst_sel:DWORD dst_unused:UNUSED_PAD src0_sel:DWORD src1_sel:WORD_1
	v_fma_f16 v21, v21, v4, -v103
	v_fmac_f16_e32 v116, v51, v11
	v_fmac_f16_e32 v124, v55, v1
	;; [unrolled: 1-line block ×6, first 2 shown]
	v_add_f16_e32 v38, v27, v31
	v_add_f16_e32 v41, v23, v35
	v_sub_f16_e32 v43, v27, v23
	v_sub_f16_e32 v44, v31, v35
	v_add_f16_e32 v45, v29, v33
	v_sub_f16_e32 v52, v29, v25
	v_sub_f16_e32 v53, v33, v37
	;; [unrolled: 1-line block ×4, first 2 shown]
	v_add_f16_e32 v107, v26, v30
	v_add_f16_e32 v110, v20, v34
	;; [unrolled: 1-line block ×8, first 2 shown]
	v_fmac_f16_e32 v105, v42, v4
	v_add_f16_e32 v42, v40, v23
	v_add_f16_e32 v50, v25, v37
	v_sub_f16_e32 v114, v20, v26
	v_sub_f16_e32 v118, v108, v116
	v_sub_f16_e32 v122, v24, v28
	v_sub_f16_e32 v126, v112, v120
	v_sub_f16_e32 v139, v24, v36
	v_sub_f16_e32 v140, v28, v32
	v_sub_f16_e32 v141, v112, v136
	v_add_f16_e32 v143, v116, v124
	v_sub_f16_e32 v144, v108, v132
	v_sub_f16_e32 v146, v20, v34
	;; [unrolled: 1-line block ×5, first 2 shown]
	v_add_f16_e32 v108, v108, v132
	v_sub_f16_e32 v152, v28, v24
	v_add_f16_e32 v24, v24, v36
	v_sub_f16_e32 v154, v120, v112
	v_add_f16_e32 v112, v112, v136
	v_fma_f16 v20, -0.5, v38, v40
	v_fmac_f16_e32 v40, -0.5, v41
	v_add_f16_e32 v38, v43, v44
	v_fma_f16 v41, -0.5, v45, v21
	v_add_f16_e32 v43, v52, v53
	v_add_f16_e32 v45, v93, v94
	v_fma_f16 v52, -0.5, v107, v39
	v_fma_f16 v39, -0.5, v110, v39
	v_add_f16_e32 v26, v111, v26
	v_add_f16_e32 v93, v130, v116
	;; [unrolled: 1-line block ×4, first 2 shown]
	v_fma_f16 v107, -0.5, v135, v102
	v_fma_f16 v110, -0.5, v138, v104
	v_fmac_f16_e32 v133, v97, v15
	v_add_f16_e32 v51, v21, v25
	v_add_f16_e32 v54, v121, v129
	;; [unrolled: 1-line block ×3, first 2 shown]
	v_sub_f16_e32 v97, v121, v129
	v_sub_f16_e32 v115, v34, v30
	;; [unrolled: 1-line block ×7, first 2 shown]
	v_fmac_f16_e32 v21, -0.5, v50
	v_fma_f16 v111, -0.5, v143, v101
	v_fmac_f16_e32 v101, -0.5, v108
	v_fmac_f16_e32 v102, -0.5, v24
	;; [unrolled: 1-line block ×3, first 2 shown]
	v_add_f16_e32 v26, v26, v30
	v_add_f16_e32 v30, v93, v124
	;; [unrolled: 1-line block ×4, first 2 shown]
	v_fmamk_f16 v93, v139, 0xbb9c, v110
	v_fmamk_f16 v94, v141, 0x3b9c, v107
	v_fmac_f16_e32 v125, v56, v13
	v_add_f16_e32 v56, v105, v113
	v_sub_f16_e32 v99, v29, v33
	v_sub_f16_e32 v103, v113, v137
	;; [unrolled: 1-line block ×6, first 2 shown]
	v_fma_f16 v44, -0.5, v54, v105
	v_fmac_f16_e32 v105, -0.5, v55
	v_add_f16_e32 v54, v122, v123
	v_add_f16_e32 v55, v126, v127
	v_fmamk_f16 v116, v97, 0xbb9c, v21
	v_fmac_f16_e32 v21, 0x3b9c, v97
	v_fmamk_f16 v123, v147, 0x3b9c, v101
	v_fmac_f16_e32 v101, 0xbb9c, v147
	v_fmamk_f16 v124, v142, 0xbb9c, v102
	v_fmamk_f16 v126, v140, 0x3b9c, v104
	v_add_f16_e32 v26, v26, v34
	v_add_f16_e32 v30, v30, v132
	;; [unrolled: 1-line block ×4, first 2 shown]
	v_fmac_f16_e32 v93, 0xb8b4, v140
	v_fmac_f16_e32 v94, 0x38b4, v142
	v_sub_f16_e32 v95, v117, v125
	v_sub_f16_e32 v106, v25, v37
	v_add_f16_e32 v53, v118, v119
	v_add_f16_e32 v108, v150, v151
	;; [unrolled: 1-line block ×4, first 2 shown]
	v_fmamk_f16 v118, v99, 0x3b9c, v105
	v_fmac_f16_e32 v105, 0xbb9c, v99
	v_fmamk_f16 v119, v144, 0x3b9c, v52
	v_fmamk_f16 v120, v146, 0xbb9c, v111
	;; [unrolled: 1-line block ×3, first 2 shown]
	v_fmac_f16_e32 v39, 0x3b9c, v145
	v_fmac_f16_e32 v102, 0x3b9c, v142
	;; [unrolled: 1-line block ×8, first 2 shown]
	v_add_f16_e32 v34, v26, v28
	v_add_f16_e32 v36, v30, v32
	v_fmac_f16_e32 v93, 0x34f2, v55
	v_fmac_f16_e32 v94, 0x34f2, v54
	;; [unrolled: 1-line block ×4, first 2 shown]
	v_sub_f16_e32 v100, v109, v133
	v_add_f16_e32 v50, v114, v115
	v_add_f16_e32 v114, v148, v149
	v_fmamk_f16 v115, v95, 0xbb9c, v40
	v_fmac_f16_e32 v40, 0x3b9c, v95
	v_fmac_f16_e32 v105, 0x38b4, v106
	v_fmac_f16_e32 v119, 0x38b4, v145
	v_fmac_f16_e32 v120, 0xb8b4, v147
	v_fmac_f16_e32 v122, 0x38b4, v144
	v_fmac_f16_e32 v39, 0xb8b4, v144
	v_fmac_f16_e32 v102, 0xb8b4, v141
	v_fmac_f16_e32 v104, 0x38b4, v139
	v_fmac_f16_e32 v21, 0x34f2, v43
	v_fmac_f16_e32 v123, 0x34f2, v108
	v_fmac_f16_e32 v101, 0x34f2, v108
	v_fmac_f16_e32 v124, 0x34f2, v24
	v_fmac_f16_e32 v126, 0x34f2, v112
	v_pack_b32_f16 v34, v34, v36
	v_mul_f16_e32 v36, 0x38b4, v93
	v_mul_f16_e32 v108, 0xb8b4, v94
	v_fmac_f16_e32 v107, 0xb8b4, v142
	v_fmac_f16_e32 v110, 0x38b4, v140
	;; [unrolled: 1-line block ×10, first 2 shown]
	v_mul_f16_e32 v24, 0xb4f2, v21
	v_mul_f16_e32 v112, 0x3b9c, v126
	;; [unrolled: 1-line block ×3, first 2 shown]
	v_fmac_f16_e32 v36, 0x3a79, v94
	v_fmac_f16_e32 v108, 0x3a79, v93
	;; [unrolled: 1-line block ×7, first 2 shown]
	v_mul_f16_e32 v127, 0xb4f2, v102
	v_mul_f16_e32 v128, 0xb4f2, v104
	v_fmac_f16_e32 v24, 0x3b9c, v105
	v_fmac_f16_e32 v112, 0x34f2, v124
	;; [unrolled: 1-line block ×3, first 2 shown]
	v_add_f16_e32 v93, v119, v36
	v_add_f16_e32 v94, v120, v108
	v_fmac_f16_e32 v52, 0xb8b4, v145
	v_fmac_f16_e32 v111, 0x38b4, v147
	v_mul_f16_e32 v54, 0xba79, v107
	v_mul_f16_e32 v55, 0xba79, v110
	v_fmac_f16_e32 v127, 0x3b9c, v104
	v_fmac_f16_e32 v128, 0xbb9c, v102
	v_add_f16_e32 v102, v40, v24
	v_sub_f16_e32 v24, v40, v24
	v_add_f16_e32 v40, v122, v112
	v_pack_b32_f16 v93, v93, v94
	v_add_f16_e32 v94, v123, v114
	v_fmac_f16_e32 v52, 0x34f2, v50
	v_fmac_f16_e32 v111, 0x34f2, v53
	;; [unrolled: 1-line block ×4, first 2 shown]
	v_pack_b32_f16 v40, v40, v94
	v_add_f16_e32 v94, v39, v127
	v_add_f16_e32 v50, v101, v128
	v_sub_f16_e32 v26, v26, v28
	v_sub_f16_e32 v28, v30, v32
	v_add_f16_e32 v30, v52, v54
	v_add_f16_e32 v32, v111, v55
	v_sub_f16_e32 v36, v119, v36
	v_sub_f16_e32 v53, v122, v112
	;; [unrolled: 1-line block ×4, first 2 shown]
	v_pack_b32_f16 v50, v94, v50
	v_pack_b32_f16 v30, v30, v32
	;; [unrolled: 1-line block ×5, first 2 shown]
	ds_write2_b32 v90, v34, v93 offset1:10
	ds_write2_b32 v90, v40, v50 offset0:20 offset1:30
	ds_write2_b32 v90, v30, v26 offset0:40 offset1:50
	;; [unrolled: 1-line block ×3, first 2 shown]
	v_sub_f16_e32 v28, v23, v27
	v_sub_f16_e32 v32, v35, v31
	v_add_f16_e32 v30, v42, v27
	v_sub_f16_e32 v40, v109, v117
	v_sub_f16_e32 v42, v133, v125
	;; [unrolled: 1-line block ×3, first 2 shown]
	v_add_f16_e32 v28, v28, v32
	v_add_f16_e32 v32, v51, v29
	;; [unrolled: 1-line block ×4, first 2 shown]
	v_sub_f16_e32 v25, v25, v29
	v_sub_f16_e32 v29, v37, v33
	v_add_f16_e32 v32, v32, v33
	v_fmamk_f16 v40, v103, 0x3b9c, v41
	v_add_f16_e32 v30, v30, v35
	v_sub_f16_e32 v23, v23, v35
	v_sub_f16_e32 v35, v113, v121
	v_add_f16_e32 v32, v32, v37
	v_sub_f16_e32 v37, v137, v129
	v_add_f16_e32 v25, v25, v29
	v_fmamk_f16 v29, v106, 0xbb9c, v44
	v_fmac_f16_e32 v40, 0x38b4, v97
	v_add_f16_e32 v42, v19, v109
	v_add_f16_e32 v33, v56, v121
	;; [unrolled: 1-line block ×3, first 2 shown]
	v_fmac_f16_e32 v29, 0xb8b4, v99
	v_fmac_f16_e32 v40, 0x34f2, v25
	v_add_f16_e32 v42, v42, v117
	v_add_f16_e32 v33, v33, v129
	v_sub_f16_e32 v26, v39, v127
	v_fmac_f16_e32 v29, 0x34f2, v35
	v_mul_f16_e32 v53, 0xb8b4, v40
	v_add_f16_e32 v42, v42, v125
	v_sub_f16_e32 v34, v52, v54
	v_sub_f16_e32 v36, v101, v128
	;; [unrolled: 1-line block ×3, first 2 shown]
	v_add_f16_e32 v37, v117, v125
	v_add_f16_e32 v33, v33, v137
	v_mul_f16_e32 v52, 0x38b4, v29
	v_fmac_f16_e32 v53, 0x3a79, v29
	v_add_f16_e32 v29, v42, v133
	v_add_f16_e32 v55, v109, v133
	v_fma_f16 v37, -0.5, v37, v19
	v_fmac_f16_e32 v52, 0x3a79, v40
	v_pack_b32_f16 v26, v26, v36
	v_add_f16_e32 v36, v30, v32
	v_add_f16_e32 v40, v29, v33
	v_fmac_f16_e32 v19, -0.5, v55
	v_pack_b32_f16 v18, v34, v39
	v_lshlrev_b32_sdwa v93, v22, v17 dst_sel:DWORD dst_unused:UNUSED_PAD src0_sel:DWORD src1_sel:WORD_0
	v_sub_f16_e32 v17, v117, v109
	v_pack_b32_f16 v34, v36, v40
	v_sub_f16_e32 v39, v125, v133
	v_fmamk_f16 v40, v27, 0x3b9c, v19
	v_fmac_f16_e32 v19, 0xbb9c, v27
	v_fmac_f16_e32 v118, 0xb8b4, v106
	;; [unrolled: 1-line block ×6, first 2 shown]
	v_add_f16_e32 v17, v17, v39
	v_fmac_f16_e32 v40, 0xb8b4, v23
	v_fmac_f16_e32 v19, 0x38b4, v23
	;; [unrolled: 1-line block ×6, first 2 shown]
	v_fmamk_f16 v50, v100, 0x3b9c, v20
	v_fmamk_f16 v51, v23, 0xbb9c, v37
	v_fmac_f16_e32 v115, 0x34f2, v38
	v_fmac_f16_e32 v40, 0x34f2, v17
	;; [unrolled: 1-line block ×3, first 2 shown]
	v_mul_f16_e32 v17, 0x3b9c, v118
	v_mul_f16_e32 v38, 0xbb9c, v116
	v_fmac_f16_e32 v20, 0xbb9c, v100
	v_fmac_f16_e32 v37, 0x3b9c, v23
	;; [unrolled: 1-line block ×6, first 2 shown]
	v_mul_f16_e32 v39, 0xb4f2, v105
	v_fmac_f16_e32 v17, 0x34f2, v116
	v_fmac_f16_e32 v38, 0x34f2, v118
	;; [unrolled: 1-line block ×4, first 2 shown]
	v_mul_f16_e32 v25, 0xba79, v41
	v_mul_f16_e32 v27, 0xba79, v44
	v_fmac_f16_e32 v50, 0x34f2, v28
	v_fmac_f16_e32 v51, 0x34f2, v31
	;; [unrolled: 1-line block ×3, first 2 shown]
	v_add_f16_e32 v21, v115, v17
	v_add_f16_e32 v23, v40, v38
	v_fmac_f16_e32 v20, 0x34f2, v28
	v_fmac_f16_e32 v37, 0x34f2, v31
	;; [unrolled: 1-line block ×4, first 2 shown]
	v_add_f16_e32 v42, v50, v52
	v_add_f16_e32 v54, v51, v53
	v_pack_b32_f16 v21, v21, v23
	v_add_f16_e32 v23, v19, v39
	v_sub_f16_e32 v28, v30, v32
	v_sub_f16_e32 v29, v29, v33
	v_add_f16_e32 v30, v20, v25
	v_add_f16_e32 v31, v37, v27
	v_sub_f16_e32 v32, v50, v52
	v_sub_f16_e32 v17, v115, v17
	;; [unrolled: 1-line block ×4, first 2 shown]
	v_pack_b32_f16 v36, v42, v54
	v_pack_b32_f16 v23, v102, v23
	;; [unrolled: 1-line block ×6, first 2 shown]
	ds_write2_b32 v90, v26, v18 offset0:80 offset1:90
	ds_write2_b32 v93, v34, v36 offset1:10
	ds_write2_b32 v93, v21, v23 offset0:20 offset1:30
	ds_write2_b32 v93, v30, v28 offset0:40 offset1:50
	;; [unrolled: 1-line block ×3, first 2 shown]
	v_lshrrev_b16 v17, 2, v16
	v_mov_b32_e32 v18, 0x147b
	v_add_co_u32 v23, null, 0x140, v80
	v_sub_f16_e32 v20, v20, v25
	v_sub_f16_e32 v19, v19, v39
	v_mul_u32_u24_sdwa v17, v17, v18 dst_sel:DWORD dst_unused:UNUSED_PAD src0_sel:WORD_0 src1_sel:DWORD
	v_lshrrev_b16 v25, 2, v23
	v_add_nc_u16 v21, v49, 0x1e0
	v_sub_f16_e32 v26, v37, v27
	v_pack_b32_f16 v19, v24, v19
	v_lshrrev_b32_e32 v42, 17, v17
	v_mul_u32_u24_sdwa v17, v25, v18 dst_sel:DWORD dst_unused:UNUSED_PAD src0_sel:WORD_0 src1_sel:DWORD
	v_lshrrev_b16 v24, 2, v21
	v_add_nc_u32_e32 v25, 0xffffff9c, v80
	v_pack_b32_f16 v20, v20, v26
	v_mul_lo_u16 v26, 0x64, v42
	v_lshrrev_b32_e32 v56, 17, v17
	v_mul_u32_u24_sdwa v24, v24, v18 dst_sel:DWORD dst_unused:UNUSED_PAD src0_sel:WORD_0 src1_sel:DWORD
	v_cndmask_b32_e32 v43, v25, v80, vcc_lo
	ds_write2_b32 v93, v19, v20 offset0:80 offset1:90
	v_sub_nc_u16 v44, v16, v26
	v_mul_lo_u16 v16, 0x64, v56
	v_lshrrev_b32_e32 v94, 17, v24
	v_mul_i32_i24_e32 v17, 12, v43
	v_mul_hi_i32_i24_e32 v19, 12, v43
	v_mul_lo_u16 v24, v44, 12
	v_sub_nc_u16 v97, v23, v16
	v_mul_lo_u16 v20, 0x64, v94
	v_add_co_u32 v16, vcc_lo, s2, v17
	v_add_co_ci_u32_e32 v17, vcc_lo, s3, v19, vcc_lo
	v_mul_lo_u16 v19, v97, 12
	v_sub_nc_u16 v104, v21, v20
	v_and_b32_e32 v20, 0xffff, v24
	s_waitcnt lgkmcnt(0)
	s_barrier
	v_and_b32_e32 v27, 0xffff, v19
	buffer_gl0_inv
	v_add_co_u32 v24, s0, s2, v20
	v_add_co_ci_u32_e64 v25, null, s3, 0, s0
	global_load_dwordx3 v[19:21], v[16:17], off offset:360
	v_add_co_u32 v16, s0, s2, v27
	v_add_co_ci_u32_e64 v17, null, s3, 0, s0
	s_clause 0x1
	global_load_dwordx3 v[37:39], v[24:25], off offset:360
	global_load_dwordx3 v[34:36], v[16:17], off offset:360
	v_mul_lo_u16 v26, v104, 12
	v_cmp_lt_u16_e32 vcc_lo, 0x63, v49
	v_mad_u16 v50, 0x190, v42, v44
	v_mad_u16 v56, 0x190, v56, v97
	v_and_b32_e32 v26, 0xffff, v26
	v_cndmask_b32_e64 v45, 0, 0x190, vcc_lo
	v_lshlrev_b32_sdwa v95, v22, v50 dst_sel:DWORD dst_unused:UNUSED_PAD src0_sel:DWORD src1_sel:WORD_0
	v_cmp_gt_u16_e32 vcc_lo, 0x50, v49
	v_add_co_u32 v16, s0, s2, v26
	v_add_co_ci_u32_e64 v17, null, s3, 0, s0
	v_add_lshl_u32 v99, v43, v45, 2
	v_add_nc_u32_e32 v97, 0x200, v95
	global_load_dwordx3 v[25:27], v[16:17], off offset:360
	v_add_nc_u16 v16, v49, 0x280
	v_add_nc_u32_e32 v100, 0x200, v99
	v_lshrrev_b16 v17, 2, v16
	v_mul_u32_u24_sdwa v17, v17, v18 dst_sel:DWORD dst_unused:UNUSED_PAD src0_sel:WORD_0 src1_sel:DWORD
	v_lshrrev_b32_e32 v24, 17, v17
	v_mul_lo_u16 v17, 0x64, v24
	v_sub_nc_u16 v106, v16, v17
	v_mul_lo_u16 v16, v106, 12
	v_mad_u16 v24, 0x190, v24, v106
	v_and_b32_e32 v16, 0xffff, v16
	v_lshlrev_b32_sdwa v106, v22, v24 dst_sel:DWORD dst_unused:UNUSED_PAD src0_sel:DWORD src1_sel:WORD_0
	v_add_nc_u32_e32 v24, 0xffffffb0, v80
	v_add_co_u32 v16, s0, s2, v16
	v_add_co_ci_u32_e64 v17, null, s3, 0, s0
	global_load_dwordx3 v[16:18], v[16:17], off offset:360
	ds_read2_b32 v[28:29], v88 offset1:160
	ds_read2_b32 v[30:31], v83 offset0:64 offset1:224
	ds_read2_b32 v[32:33], v76 offset0:64 offset1:224
	ds_read2_b32 v[40:41], v84 offset1:160
	ds_read2_b32 v[42:43], v87 offset0:64 offset1:224
	ds_read2_b32 v[44:45], v73 offset1:160
	ds_read2_b32 v[50:51], v78 offset1:160
	ds_read2_b32 v[52:53], v89 offset0:64 offset1:224
	ds_read2_b32 v[54:55], v81 offset1:160
	ds_read2_b32 v[101:102], v71 offset0:64 offset1:224
	s_waitcnt vmcnt(0) lgkmcnt(0)
	s_barrier
	buffer_gl0_inv
	v_lshrrev_b32_e32 v103, 16, v29
	v_lshrrev_b32_e32 v105, 16, v30
	v_lshrrev_b32_e32 v107, 16, v33
	v_lshrrev_b32_e32 v109, 16, v31
	v_lshrrev_b32_e32 v111, 16, v42
	v_lshrrev_b32_e32 v112, 16, v44
	v_lshrrev_b32_e32 v108, 16, v40
	v_lshrrev_b32_e32 v110, 16, v41
	v_lshrrev_b32_e32 v113, 16, v43
	v_lshrrev_b32_e32 v114, 16, v45
	v_lshrrev_b32_e32 v115, 16, v50
	v_lshrrev_b32_e32 v116, 16, v52
	v_lshrrev_b32_e32 v117, 16, v51
	v_lshrrev_b32_e32 v118, 16, v54
	v_lshrrev_b32_e32 v119, 16, v101
	v_mul_f16_sdwa v120, v29, v19 dst_sel:DWORD dst_unused:UNUSED_PAD src0_sel:DWORD src1_sel:WORD_1
	v_mul_f16_sdwa v121, v103, v19 dst_sel:DWORD dst_unused:UNUSED_PAD src0_sel:DWORD src1_sel:WORD_1
	v_mul_f16_sdwa v122, v30, v20 dst_sel:DWORD dst_unused:UNUSED_PAD src0_sel:DWORD src1_sel:WORD_1
	v_mul_f16_sdwa v123, v105, v20 dst_sel:DWORD dst_unused:UNUSED_PAD src0_sel:DWORD src1_sel:WORD_1
	v_mul_f16_sdwa v124, v33, v21 dst_sel:DWORD dst_unused:UNUSED_PAD src0_sel:DWORD src1_sel:WORD_1
	v_mul_f16_sdwa v125, v107, v21 dst_sel:DWORD dst_unused:UNUSED_PAD src0_sel:DWORD src1_sel:WORD_1
	v_mul_f16_sdwa v126, v109, v38 dst_sel:DWORD dst_unused:UNUSED_PAD src0_sel:DWORD src1_sel:WORD_1
	v_mul_f16_sdwa v127, v31, v38 dst_sel:DWORD dst_unused:UNUSED_PAD src0_sel:DWORD src1_sel:WORD_1
	v_mul_f16_sdwa v128, v42, v37 dst_sel:DWORD dst_unused:UNUSED_PAD src0_sel:DWORD src1_sel:WORD_1
	v_mul_f16_sdwa v129, v111, v37 dst_sel:DWORD dst_unused:UNUSED_PAD src0_sel:DWORD src1_sel:WORD_1
	v_mul_f16_sdwa v130, v44, v39 dst_sel:DWORD dst_unused:UNUSED_PAD src0_sel:DWORD src1_sel:WORD_1
	v_mul_f16_sdwa v131, v112, v39 dst_sel:DWORD dst_unused:UNUSED_PAD src0_sel:DWORD src1_sel:WORD_1
	v_fmac_f16_e32 v120, v103, v19
	v_fmac_f16_e32 v122, v105, v20
	;; [unrolled: 1-line block ×3, first 2 shown]
	v_fma_f16 v29, v29, v19, -v121
	v_fma_f16 v30, v30, v20, -v123
	;; [unrolled: 1-line block ×4, first 2 shown]
	v_fmac_f16_e32 v127, v109, v38
	v_fmac_f16_e32 v128, v111, v37
	;; [unrolled: 1-line block ×3, first 2 shown]
	v_fma_f16 v42, v42, v37, -v129
	v_fma_f16 v44, v44, v39, -v131
	v_mul_f16_sdwa v133, v43, v34 dst_sel:DWORD dst_unused:UNUSED_PAD src0_sel:DWORD src1_sel:WORD_1
	v_sub_f16_e32 v30, v40, v30
	v_sub_f16_e32 v103, v108, v122
	v_sub_f16_e32 v33, v29, v33
	v_sub_f16_e32 v105, v120, v124
	v_mul_f16_sdwa v135, v45, v36 dst_sel:DWORD dst_unused:UNUSED_PAD src0_sel:DWORD src1_sel:WORD_1
	v_sub_f16_e32 v31, v41, v31
	v_sub_f16_e32 v44, v42, v44
	;; [unrolled: 1-line block ×4, first 2 shown]
	v_mul_f16_sdwa v132, v113, v34 dst_sel:DWORD dst_unused:UNUSED_PAD src0_sel:DWORD src1_sel:WORD_1
	v_mul_f16_sdwa v134, v114, v36 dst_sel:DWORD dst_unused:UNUSED_PAD src0_sel:DWORD src1_sel:WORD_1
	;; [unrolled: 1-line block ×4, first 2 shown]
	v_fmac_f16_e32 v133, v113, v34
	v_fma_f16 v108, v108, 2.0, -v103
	v_fma_f16 v29, v29, 2.0, -v33
	;; [unrolled: 1-line block ×4, first 2 shown]
	v_fmac_f16_e32 v135, v114, v36
	v_sub_f16_e32 v105, v30, v105
	v_add_f16_e32 v33, v103, v33
	v_fma_f16 v41, v41, 2.0, -v31
	v_fma_f16 v42, v42, 2.0, -v44
	;; [unrolled: 1-line block ×4, first 2 shown]
	v_fma_f16 v43, v43, v34, -v132
	v_fma_f16 v45, v45, v36, -v134
	v_fmac_f16_e32 v136, v115, v35
	v_fma_f16 v50, v50, v35, -v137
	v_add_f16_e32 v44, v109, v44
	v_sub_f16_e32 v29, v40, v29
	v_sub_f16_e32 v113, v108, v113
	;; [unrolled: 1-line block ×3, first 2 shown]
	v_pack_b32_f16 v120, v105, v33
	v_fma_f16 v30, v30, 2.0, -v105
	v_fma_f16 v33, v103, 2.0, -v33
	v_sub_f16_e32 v42, v41, v42
	v_sub_f16_e32 v105, v110, v114
	;; [unrolled: 1-line block ×6, first 2 shown]
	v_fma_f16 v103, v109, 2.0, -v44
	v_pack_b32_f16 v109, v29, v113
	v_fma_f16 v29, v40, 2.0, -v29
	v_fma_f16 v40, v108, 2.0, -v113
	;; [unrolled: 1-line block ×3, first 2 shown]
	v_pack_b32_f16 v30, v30, v33
	v_fma_f16 v33, v41, 2.0, -v42
	v_fma_f16 v41, v110, 2.0, -v105
	;; [unrolled: 1-line block ×6, first 2 shown]
	v_pack_b32_f16 v29, v29, v40
	v_pack_b32_f16 v31, v31, v103
	;; [unrolled: 1-line block ×3, first 2 shown]
	v_mul_f16_sdwa v138, v117, v26 dst_sel:DWORD dst_unused:UNUSED_PAD src0_sel:DWORD src1_sel:WORD_1
	v_mul_f16_sdwa v139, v51, v26 dst_sel:DWORD dst_unused:UNUSED_PAD src0_sel:DWORD src1_sel:WORD_1
	v_pack_b32_f16 v44, v107, v44
	v_sub_f16_e32 v43, v52, v43
	v_sub_f16_e32 v107, v115, v116
	v_pack_b32_f16 v40, v42, v105
	ds_write2_b32 v100, v109, v120 offset0:72 offset1:172
	ds_write2_b32 v99, v29, v30 offset1:100
	ds_write2_b32 v95, v33, v31 offset1:100
	v_mul_f16_sdwa v30, v54, v25 dst_sel:DWORD dst_unused:UNUSED_PAD src0_sel:DWORD src1_sel:WORD_1
	v_mul_f16_sdwa v31, v118, v25 dst_sel:DWORD dst_unused:UNUSED_PAD src0_sel:DWORD src1_sel:WORD_1
	;; [unrolled: 1-line block ×4, first 2 shown]
	v_fma_f16 v52, v52, 2.0, -v43
	v_fma_f16 v103, v115, 2.0, -v107
	v_fma_f16 v29, v51, v26, -v138
	v_fmac_f16_e32 v139, v117, v26
	v_lshrrev_b32_e32 v51, 16, v53
	v_fmac_f16_e32 v30, v118, v25
	v_fma_f16 v31, v54, v25, -v31
	v_fma_f16 v33, v101, v27, -v33
	v_fmac_f16_e32 v42, v119, v27
	v_pack_b32_f16 v41, v52, v103
	v_sub_f16_e32 v29, v53, v29
	v_sub_f16_e32 v52, v51, v139
	v_sub_f16_e32 v33, v31, v33
	v_sub_f16_e32 v42, v30, v42
	v_sub_f16_e32 v112, v50, v112
	v_add_f16_e32 v45, v111, v45
	v_fma_f16 v53, v53, 2.0, -v29
	v_fma_f16 v51, v51, 2.0, -v52
	;; [unrolled: 1-line block ×6, first 2 shown]
	v_lshlrev_b32_sdwa v103, v22, v56 dst_sel:DWORD dst_unused:UNUSED_PAD src0_sel:DWORD src1_sel:WORD_0
	v_sub_f16_e32 v31, v53, v31
	v_sub_f16_e32 v30, v51, v30
	ds_write2_b32 v97, v40, v44 offset0:72 offset1:172
	v_pack_b32_f16 v50, v50, v54
	v_pack_b32_f16 v43, v43, v107
	v_fma_f16 v40, v53, 2.0, -v31
	v_fma_f16 v44, v51, 2.0, -v30
	v_pack_b32_f16 v45, v112, v45
	v_add_nc_u32_e32 v101, 0x200, v103
	ds_write2_b32 v103, v41, v50 offset1:100
	ds_write2_b32 v101, v43, v45 offset0:72 offset1:172
	v_lshrrev_b32_e32 v41, 16, v55
	v_pack_b32_f16 v40, v40, v44
	v_lshrrev_b32_e32 v44, 16, v32
	v_lshrrev_b32_e32 v50, 16, v102
	v_mul_f16_sdwa v54, v32, v17 dst_sel:DWORD dst_unused:UNUSED_PAD src0_sel:DWORD src1_sel:WORD_1
	v_mul_f16_sdwa v45, v41, v16 dst_sel:DWORD dst_unused:UNUSED_PAD src0_sel:DWORD src1_sel:WORD_1
	v_sub_f16_e32 v42, v29, v42
	v_mul_f16_sdwa v51, v44, v17 dst_sel:DWORD dst_unused:UNUSED_PAD src0_sel:DWORD src1_sel:WORD_1
	v_mul_f16_sdwa v53, v50, v18 dst_sel:DWORD dst_unused:UNUSED_PAD src0_sel:DWORD src1_sel:WORD_1
	v_add_f16_e32 v33, v52, v33
	v_fma_f16 v45, v55, v16, -v45
	v_mul_f16_sdwa v55, v55, v16 dst_sel:DWORD dst_unused:UNUSED_PAD src0_sel:DWORD src1_sel:WORD_1
	v_fma_f16 v32, v32, v17, -v51
	v_mul_f16_sdwa v51, v102, v18 dst_sel:DWORD dst_unused:UNUSED_PAD src0_sel:DWORD src1_sel:WORD_1
	v_fma_f16 v53, v102, v18, -v53
	v_fmac_f16_e32 v54, v44, v17
	v_lshrrev_b32_e32 v44, 16, v28
	v_fmac_f16_e32 v55, v41, v16
	v_fmac_f16_e32 v51, v50, v18
	v_fma_f16 v29, v29, 2.0, -v42
	v_fma_f16 v41, v52, 2.0, -v33
	v_sub_f16_e32 v32, v28, v32
	v_sub_f16_e32 v50, v44, v54
	;; [unrolled: 1-line block ×4, first 2 shown]
	v_pack_b32_f16 v41, v29, v41
	v_fma_f16 v28, v28, 2.0, -v32
	v_fma_f16 v29, v44, 2.0, -v50
	;; [unrolled: 1-line block ×4, first 2 shown]
	v_mad_u16 v43, 0x190, v94, v104
	v_pack_b32_f16 v30, v31, v30
	v_pack_b32_f16 v31, v42, v33
	v_sub_f16_e32 v33, v28, v44
	v_sub_f16_e32 v42, v29, v45
	v_lshlrev_b32_sdwa v105, v22, v43 dst_sel:DWORD dst_unused:UNUSED_PAD src0_sel:DWORD src1_sel:WORD_0
	v_sub_f16_e32 v43, v32, v51
	v_add_f16_e32 v44, v50, v52
	v_fma_f16 v28, v28, 2.0, -v33
	v_fma_f16 v29, v29, 2.0, -v42
	v_add_nc_u32_e32 v107, 0x200, v105
	v_fma_f16 v32, v32, 2.0, -v43
	v_fma_f16 v45, v50, 2.0, -v44
	v_cndmask_b32_e32 v50, v24, v23, vcc_lo
	v_pack_b32_f16 v22, v28, v29
	v_mad_u64_u32 v[28:29], null, v80, 12, s[2:3]
	v_pack_b32_f16 v32, v32, v45
	v_pack_b32_f16 v33, v33, v42
	v_pack_b32_f16 v42, v43, v44
	v_add_nc_u32_e32 v109, 0x200, v106
	ds_write2_b32 v105, v40, v41 offset1:100
	ds_write2_b32 v107, v30, v31 offset0:72 offset1:172
	ds_write2_b32 v106, v22, v32 offset1:100
	ds_write2_b32 v109, v33, v42 offset0:72 offset1:172
	v_mul_i32_i24_e32 v32, 12, v50
	v_mul_hi_i32_i24_e32 v33, 12, v50
	v_add_co_u32 v30, vcc_lo, 0x800, v28
	v_add_co_ci_u32_e32 v31, vcc_lo, 0, v29, vcc_lo
	v_add_co_u32 v32, vcc_lo, s2, v32
	v_add_co_ci_u32_e32 v33, vcc_lo, s3, v33, vcc_lo
	s_waitcnt lgkmcnt(0)
	s_barrier
	buffer_gl0_inv
	s_clause 0x2
	global_load_dwordx3 v[22:24], v[28:29], off offset:1560
	global_load_dwordx3 v[43:45], v[30:31], off offset:1432
	global_load_dwordx3 v[40:42], v[32:33], off offset:1560
	v_add_co_u32 v32, vcc_lo, 0x1000, v28
	v_add_co_ci_u32_e32 v33, vcc_lo, 0, v29, vcc_lo
	s_clause 0x1
	global_load_dwordx3 v[28:30], v[30:31], off offset:472
	global_load_dwordx3 v[31:33], v[32:33], off offset:344
	v_cmp_lt_u16_e32 vcc_lo, 0x4f, v49
	v_add_co_u32 v126, s0, s2, v84
	v_add_co_ci_u32_e64 v127, null, s3, 0, s0
	v_cndmask_b32_e64 v49, 0, 0x640, vcc_lo
	v_add_co_u32 v110, vcc_lo, 0x1800, v126
	v_add_co_ci_u32_e32 v111, vcc_lo, 0, v127, vcc_lo
	v_add_lshl_u32 v108, v50, v49, 2
	ds_read2_b32 v[49:50], v83 offset0:64 offset1:224
	ds_read2_b32 v[51:52], v76 offset0:64 offset1:224
	;; [unrolled: 1-line block ×3, first 2 shown]
	ds_read2_b32 v[55:56], v73 offset1:160
	ds_read2_b32 v[112:113], v78 offset1:160
	;; [unrolled: 1-line block ×3, first 2 shown]
	ds_read2_b32 v[116:117], v71 offset0:64 offset1:224
	ds_read2_b32 v[120:121], v84 offset1:160
	ds_read2_b32 v[122:123], v88 offset1:160
	ds_read2_b32 v[124:125], v89 offset0:64 offset1:224
	s_waitcnt vmcnt(0) lgkmcnt(0)
	s_barrier
	buffer_gl0_inv
	v_add_co_u32 v118, vcc_lo, 0x2000, v126
	v_add_co_ci_u32_e32 v119, vcc_lo, 0, v127, vcc_lo
	v_add_nc_u32_e32 v102, 0x1a00, v84
	v_add_nc_u32_e32 v94, 0x2000, v84
	;; [unrolled: 1-line block ×3, first 2 shown]
	s_mov_b32 s2, 0x47ae147b
	s_mov_b32 s3, 0x3f347ae1
	v_lshrrev_b32_e32 v128, 16, v49
	v_lshrrev_b32_e32 v129, 16, v50
	v_lshrrev_b32_e32 v130, 16, v52
	v_lshrrev_b32_e32 v131, 16, v53
	v_lshrrev_b32_e32 v132, 16, v55
	v_lshrrev_b32_e32 v143, 16, v123
	v_lshrrev_b32_e32 v133, 16, v54
	v_lshrrev_b32_e32 v134, 16, v56
	v_lshrrev_b32_e32 v135, 16, v112
	v_lshrrev_b32_e32 v136, 16, v113
	v_lshrrev_b32_e32 v137, 16, v114
	v_lshrrev_b32_e32 v138, 16, v115
	v_lshrrev_b32_e32 v139, 16, v51
	v_lshrrev_b32_e32 v140, 16, v116
	v_lshrrev_b32_e32 v141, 16, v117
	v_lshrrev_b32_e32 v142, 16, v120
	v_lshrrev_b32_e32 v144, 16, v121
	v_lshrrev_b32_e32 v145, 16, v124
	v_lshrrev_b32_e32 v146, 16, v125
	v_lshrrev_b32_e32 v147, 16, v122
	v_mul_f16_sdwa v148, v128, v23 dst_sel:DWORD dst_unused:UNUSED_PAD src0_sel:DWORD src1_sel:WORD_1
	v_mul_f16_sdwa v149, v129, v44 dst_sel:DWORD dst_unused:UNUSED_PAD src0_sel:DWORD src1_sel:WORD_1
	;; [unrolled: 1-line block ×30, first 2 shown]
	v_fma_f16 v49, v49, v23, -v148
	v_fma_f16 v50, v50, v44, -v149
	;; [unrolled: 1-line block ×5, first 2 shown]
	v_fmac_f16_e32 v150, v128, v23
	v_fmac_f16_e32 v151, v129, v44
	;; [unrolled: 1-line block ×6, first 2 shown]
	v_fma_f16 v123, v123, v22, -v177
	v_fma_f16 v54, v54, v40, -v158
	;; [unrolled: 1-line block ×4, first 2 shown]
	v_fmac_f16_e32 v159, v133, v40
	v_fmac_f16_e32 v164, v135, v41
	;; [unrolled: 1-line block ×3, first 2 shown]
	v_fma_f16 v113, v113, v29, -v163
	v_fma_f16 v114, v114, v28, -v166
	;; [unrolled: 1-line block ×6, first 2 shown]
	v_fmac_f16_e32 v168, v137, v28
	v_fmac_f16_e32 v165, v136, v29
	;; [unrolled: 1-line block ×6, first 2 shown]
	v_sub_f16_e32 v49, v120, v49
	v_sub_f16_e32 v50, v121, v50
	;; [unrolled: 1-line block ×20, first 2 shown]
	v_fma_f16 v120, v120, 2.0, -v49
	v_fma_f16 v121, v121, 2.0, -v50
	;; [unrolled: 1-line block ×4, first 2 shown]
	v_sub_f16_e32 v128, v49, v128
	v_add_f16_e32 v52, v129, v52
	v_fma_f16 v139, v142, 2.0, -v129
	v_fma_f16 v140, v144, 2.0, -v130
	;; [unrolled: 1-line block ×5, first 2 shown]
	v_sub_f16_e32 v131, v50, v131
	v_add_f16_e32 v55, v130, v55
	v_fma_f16 v54, v54, 2.0, -v56
	v_fma_f16 v142, v159, 2.0, -v132
	v_sub_f16_e32 v132, v112, v132
	v_add_f16_e32 v56, v133, v56
	v_fma_f16 v143, v145, 2.0, -v133
	v_fma_f16 v125, v125, 2.0, -v113
	;; [unrolled: 1-line block ×11, first 2 shown]
	v_pack_b32_f16 v52, v128, v52
	v_sub_f16_e32 v123, v120, v123
	v_sub_f16_e32 v128, v139, v138
	;; [unrolled: 1-line block ×4, first 2 shown]
	v_fma_f16 v50, v50, 2.0, -v131
	v_fma_f16 v130, v130, 2.0, -v55
	v_pack_b32_f16 v55, v131, v55
	v_fma_f16 v112, v112, 2.0, -v132
	v_fma_f16 v131, v133, 2.0, -v56
	v_pack_b32_f16 v56, v132, v56
	v_sub_f16_e32 v54, v124, v54
	v_sub_f16_e32 v132, v143, v142
	;; [unrolled: 1-line block ×3, first 2 shown]
	v_add_f16_e32 v116, v134, v116
	v_sub_f16_e32 v137, v51, v137
	v_add_f16_e32 v117, v136, v117
	v_sub_f16_e32 v114, v125, v114
	v_sub_f16_e32 v133, v144, v145
	;; [unrolled: 1-line block ×4, first 2 shown]
	v_pack_b32_f16 v49, v49, v129
	v_fma_f16 v120, v120, 2.0, -v123
	v_fma_f16 v129, v139, 2.0, -v128
	v_pack_b32_f16 v123, v123, v128
	v_fma_f16 v121, v121, 2.0, -v53
	v_fma_f16 v128, v140, 2.0, -v138
	ds_write_b32 v84, v52 offset:4800
	v_pack_b32_f16 v52, v53, v138
	v_pack_b32_f16 v53, v112, v131
	v_fma_f16 v112, v124, 2.0, -v54
	v_fma_f16 v124, v143, 2.0, -v132
	;; [unrolled: 1-line block ×6, first 2 shown]
	v_pack_b32_f16 v50, v50, v130
	v_fma_f16 v125, v125, 2.0, -v114
	v_fma_f16 v130, v144, 2.0, -v133
	;; [unrolled: 1-line block ×4, first 2 shown]
	v_pack_b32_f16 v120, v120, v129
	v_pack_b32_f16 v121, v121, v128
	ds_write_b32 v84, v49 offset:1600
	ds_write_b32 v84, v123 offset:3200
	v_pack_b32_f16 v49, v112, v124
	v_pack_b32_f16 v116, v135, v116
	;; [unrolled: 1-line block ×10, first 2 shown]
	ds_write2_b32 v84, v120, v121 offset1:160
	ds_write_b32 v84, v50 offset:2240
	ds_write_b32 v84, v52 offset:3840
	ds_write_b32 v84, v55 offset:5440
	ds_write_b32 v108, v49
	ds_write_b32 v108, v53 offset:1600
	ds_write_b32 v108, v54 offset:3200
	;; [unrolled: 1-line block ×3, first 2 shown]
	ds_write2_b32 v102, v112, v122 offset0:16 offset1:176
	ds_write2_b32 v94, v113, v51 offset0:32 offset1:192
	;; [unrolled: 1-line block ×4, first 2 shown]
	v_add_co_u32 v49, vcc_lo, 0x2800, v126
	s_waitcnt lgkmcnt(0)
	s_barrier
	buffer_gl0_inv
	s_clause 0x3
	global_load_dword v117, v[110:111], off offset:216
	global_load_dword v116, v[110:111], off offset:856
	;; [unrolled: 1-line block ×4, first 2 shown]
	v_add_co_ci_u32_e32 v50, vcc_lo, 0, v127, vcc_lo
	s_clause 0x5
	global_load_dword v114, v[118:119], off offset:728
	global_load_dword v113, v[118:119], off offset:1368
	;; [unrolled: 1-line block ×6, first 2 shown]
	ds_read2_b32 v[49:50], v83 offset0:64 offset1:224
	ds_read2_b32 v[51:52], v78 offset1:160
	ds_read2_b32 v[53:54], v76 offset0:64 offset1:224
	ds_read2_b32 v[55:56], v73 offset1:160
	;; [unrolled: 2-line block ×5, first 2 shown]
	v_add_nc_u32_e32 v122, 0x1b00, v84
	v_add_nc_u32_e32 v118, 0x2500, v84
	;; [unrolled: 1-line block ×3, first 2 shown]
	s_waitcnt lgkmcnt(9)
	v_lshrrev_b32_e32 v135, 16, v49
	v_lshrrev_b32_e32 v136, 16, v50
	s_waitcnt lgkmcnt(8)
	v_lshrrev_b32_e32 v137, 16, v51
	v_lshrrev_b32_e32 v138, 16, v52
	;; [unrolled: 3-line block ×10, first 2 shown]
	s_waitcnt vmcnt(9)
	v_mul_f16_sdwa v155, v135, v117 dst_sel:DWORD dst_unused:UNUSED_PAD src0_sel:DWORD src1_sel:WORD_1
	s_waitcnt vmcnt(8)
	v_mul_f16_sdwa v156, v136, v116 dst_sel:DWORD dst_unused:UNUSED_PAD src0_sel:DWORD src1_sel:WORD_1
	v_mul_f16_sdwa v157, v49, v117 dst_sel:DWORD dst_unused:UNUSED_PAD src0_sel:DWORD src1_sel:WORD_1
	;; [unrolled: 1-line block ×3, first 2 shown]
	s_waitcnt vmcnt(7)
	v_mul_f16_sdwa v159, v51, v115 dst_sel:DWORD dst_unused:UNUSED_PAD src0_sel:DWORD src1_sel:WORD_1
	v_mul_f16_sdwa v160, v137, v115 dst_sel:DWORD dst_unused:UNUSED_PAD src0_sel:DWORD src1_sel:WORD_1
	s_waitcnt vmcnt(6)
	v_mul_f16_sdwa v161, v138, v111 dst_sel:DWORD dst_unused:UNUSED_PAD src0_sel:DWORD src1_sel:WORD_1
	v_mul_f16_sdwa v162, v52, v111 dst_sel:DWORD dst_unused:UNUSED_PAD src0_sel:DWORD src1_sel:WORD_1
	;; [unrolled: 3-line block ×6, first 2 shown]
	s_waitcnt vmcnt(1)
	v_mul_f16_sdwa v171, v143, v120 dst_sel:DWORD dst_unused:UNUSED_PAD src0_sel:DWORD src1_sel:WORD_1
	s_waitcnt vmcnt(0)
	v_mul_f16_sdwa v172, v144, v119 dst_sel:DWORD dst_unused:UNUSED_PAD src0_sel:DWORD src1_sel:WORD_1
	v_mul_f16_sdwa v173, v123, v120 dst_sel:DWORD dst_unused:UNUSED_PAD src0_sel:DWORD src1_sel:WORD_1
	;; [unrolled: 1-line block ×3, first 2 shown]
	v_fma_f16 v49, v49, v117, -v155
	v_fma_f16 v50, v50, v116, -v156
	v_fmac_f16_e32 v157, v135, v117
	v_fmac_f16_e32 v158, v136, v116
	v_fma_f16 v51, v51, v115, -v160
	v_fma_f16 v52, v52, v111, -v161
	v_fmac_f16_e32 v159, v137, v115
	v_fmac_f16_e32 v162, v138, v111
	v_fma_f16 v53, v53, v114, -v164
	v_fma_f16 v54, v54, v113, -v165
	;; [unrolled: 1-line block ×3, first 2 shown]
	v_fmac_f16_e32 v163, v139, v114
	v_fmac_f16_e32 v166, v140, v113
	;; [unrolled: 1-line block ×3, first 2 shown]
	v_fma_f16 v56, v56, v110, -v168
	v_fmac_f16_e32 v170, v142, v110
	v_fma_f16 v123, v123, v120, -v171
	v_fma_f16 v124, v124, v119, -v172
	v_fmac_f16_e32 v173, v143, v120
	v_fmac_f16_e32 v174, v144, v119
	v_sub_f16_e32 v135, v145, v157
	v_sub_f16_e32 v49, v125, v49
	;; [unrolled: 1-line block ×20, first 2 shown]
	v_fma_f16 v145, v145, 2.0, -v135
	v_pack_b32_f16 v135, v49, v135
	v_fma_f16 v49, v125, 2.0, -v49
	v_fma_f16 v125, v126, 2.0, -v50
	v_fma_f16 v126, v146, 2.0, -v136
	v_pack_b32_f16 v50, v50, v136
	v_fma_f16 v136, v147, 2.0, -v137
	v_pack_b32_f16 v137, v51, v137
	v_fma_f16 v51, v127, 2.0, -v51
	v_fma_f16 v127, v128, 2.0, -v52
	v_fma_f16 v128, v148, 2.0, -v138
	v_pack_b32_f16 v52, v52, v138
	;; [unrolled: 6-line block ×4, first 2 shown]
	v_pack_b32_f16 v142, v123, v143
	v_fma_f16 v143, v153, 2.0, -v143
	v_fma_f16 v123, v133, 2.0, -v123
	;; [unrolled: 1-line block ×4, first 2 shown]
	v_pack_b32_f16 v49, v49, v145
	v_pack_b32_f16 v125, v125, v126
	;; [unrolled: 1-line block ×8, first 2 shown]
	ds_write_b32 v84, v135 offset:6400
	v_pack_b32_f16 v128, v131, v132
	v_pack_b32_f16 v123, v123, v143
	;; [unrolled: 1-line block ×3, first 2 shown]
	ds_write2_b32 v84, v49, v125 offset1:160
	ds_write2_b32 v122, v50, v137 offset0:32 offset1:192
	ds_write2_b32 v89, v51, v126 offset0:64 offset1:224
	;; [unrolled: 1-line block ×3, first 2 shown]
	ds_write2_b32 v88, v53, v127 offset1:160
	ds_write2_b32 v118, v54, v141 offset0:32 offset1:192
	ds_write2_b32 v87, v55, v128 offset0:64 offset1:224
	ds_write2_b32 v121, v56, v142 offset0:32 offset1:192
	ds_write2_b32 v81, v123, v129 offset1:160
	ds_write_b32 v84, v124 offset:12160
	s_waitcnt lgkmcnt(0)
	s_barrier
	buffer_gl0_inv
	s_clause 0x1
	global_load_dword v55, v84, s[6:7]
	global_load_dword v56, v84, s[6:7] offset:640
	v_add_co_u32 v123, s0, s6, v84
	v_add_co_ci_u32_e64 v124, null, s7, 0, s0
	v_add_nc_u32_e32 v149, 0x200, v84
	v_add_co_u32 v49, vcc_lo, 0x800, v123
	v_add_co_ci_u32_e32 v50, vcc_lo, 0, v124, vcc_lo
	v_add_co_u32 v51, vcc_lo, 0x1000, v123
	v_add_co_ci_u32_e32 v52, vcc_lo, 0, v124, vcc_lo
	;; [unrolled: 2-line block ×3, first 2 shown]
	s_clause 0x8
	global_load_dword v131, v84, s[6:7] offset:1280
	global_load_dword v132, v84, s[6:7] offset:1920
	global_load_dword v133, v[49:50], off offset:512
	global_load_dword v134, v[49:50], off offset:1152
	global_load_dword v135, v[49:50], off offset:1792
	global_load_dword v136, v[51:52], off offset:384
	global_load_dword v137, v48, s[6:7]
	global_load_dword v138, v[51:52], off offset:1664
	global_load_dword v139, v[53:54], off offset:256
	v_add_co_u32 v48, vcc_lo, 0x2000, v123
	v_add_co_ci_u32_e32 v49, vcc_lo, 0, v124, vcc_lo
	s_clause 0x4
	global_load_dword v140, v[53:54], off offset:896
	global_load_dword v141, v[53:54], off offset:1536
	;; [unrolled: 1-line block ×5, first 2 shown]
	v_add_co_u32 v48, vcc_lo, 0x2800, v123
	v_add_co_ci_u32_e32 v49, vcc_lo, 0, v124, vcc_lo
	s_clause 0x3
	global_load_dword v145, v47, s[6:7]
	global_load_dword v146, v[48:49], off offset:640
	global_load_dword v147, v[48:49], off offset:1280
	;; [unrolled: 1-line block ×3, first 2 shown]
	ds_read2_b32 v[47:48], v84 offset1:160
	v_add_nc_u32_e32 v150, 0x700, v84
	v_add_nc_u32_e32 v151, 0xc00, v84
	;; [unrolled: 1-line block ×4, first 2 shown]
	s_mul_i32 s6, s9, 0xa00
	s_waitcnt lgkmcnt(0)
	v_lshrrev_b32_e32 v49, 16, v47
	v_lshrrev_b32_e32 v53, 16, v48
	s_waitcnt vmcnt(19)
	v_mul_f16_sdwa v50, v47, v55 dst_sel:DWORD dst_unused:UNUSED_PAD src0_sel:DWORD src1_sel:WORD_1
	v_mul_f16_sdwa v51, v49, v55 dst_sel:DWORD dst_unused:UNUSED_PAD src0_sel:DWORD src1_sel:WORD_1
	v_fmac_f16_e32 v50, v49, v55
	v_fma_f16 v47, v47, v55, -v51
	s_waitcnt vmcnt(18)
	v_mul_f16_sdwa v55, v48, v56 dst_sel:DWORD dst_unused:UNUSED_PAD src0_sel:DWORD src1_sel:WORD_1
	v_pack_b32_f16 v47, v47, v50
	v_fmac_f16_e32 v55, v53, v56
	ds_write_b32 v84, v47
	ds_read2_b32 v[49:50], v89 offset0:64 offset1:224
	v_mul_f16_sdwa v47, v53, v56 dst_sel:DWORD dst_unused:UNUSED_PAD src0_sel:DWORD src1_sel:WORD_1
	ds_read2_b32 v[51:52], v88 offset1:160
	ds_read2_b32 v[53:54], v81 offset1:160
	v_fma_f16 v123, v48, v56, -v47
	ds_read2_b32 v[47:48], v87 offset0:64 offset1:224
	v_pack_b32_f16 v154, v123, v55
	ds_read2_b32 v[55:56], v83 offset0:64 offset1:224
	ds_read2_b32 v[123:124], v78 offset1:160
	ds_read2_b32 v[125:126], v76 offset0:64 offset1:224
	ds_read2_b32 v[127:128], v73 offset1:160
	ds_read2_b32 v[129:130], v71 offset0:64 offset1:224
	s_waitcnt lgkmcnt(8)
	v_lshrrev_b32_e32 v155, 16, v49
	v_lshrrev_b32_e32 v157, 16, v50
	s_waitcnt vmcnt(17)
	v_mul_f16_sdwa v156, v49, v131 dst_sel:DWORD dst_unused:UNUSED_PAD src0_sel:DWORD src1_sel:WORD_1
	s_waitcnt vmcnt(16)
	v_mul_f16_sdwa v158, v50, v132 dst_sel:DWORD dst_unused:UNUSED_PAD src0_sel:DWORD src1_sel:WORD_1
	s_waitcnt lgkmcnt(7)
	v_lshrrev_b32_e32 v159, 16, v51
	v_mul_f16_sdwa v184, v155, v131 dst_sel:DWORD dst_unused:UNUSED_PAD src0_sel:DWORD src1_sel:WORD_1
	v_mul_f16_sdwa v186, v157, v132 dst_sel:DWORD dst_unused:UNUSED_PAD src0_sel:DWORD src1_sel:WORD_1
	s_waitcnt vmcnt(15)
	v_mul_f16_sdwa v161, v51, v133 dst_sel:DWORD dst_unused:UNUSED_PAD src0_sel:DWORD src1_sel:WORD_1
	v_lshrrev_b32_e32 v160, 16, v52
	s_waitcnt vmcnt(14)
	v_mul_f16_sdwa v162, v52, v134 dst_sel:DWORD dst_unused:UNUSED_PAD src0_sel:DWORD src1_sel:WORD_1
	s_waitcnt lgkmcnt(5)
	v_lshrrev_b32_e32 v163, 16, v47
	s_waitcnt vmcnt(13)
	v_mul_f16_sdwa v164, v47, v135 dst_sel:DWORD dst_unused:UNUSED_PAD src0_sel:DWORD src1_sel:WORD_1
	v_lshrrev_b32_e32 v165, 16, v48
	s_waitcnt vmcnt(12)
	v_mul_f16_sdwa v166, v48, v136 dst_sel:DWORD dst_unused:UNUSED_PAD src0_sel:DWORD src1_sel:WORD_1
	;; [unrolled: 3-line block ×4, first 2 shown]
	s_waitcnt lgkmcnt(4)
	v_lshrrev_b32_e32 v171, 16, v55
	s_waitcnt vmcnt(9)
	v_mul_f16_sdwa v172, v55, v139 dst_sel:DWORD dst_unused:UNUSED_PAD src0_sel:DWORD src1_sel:WORD_1
	v_lshrrev_b32_e32 v173, 16, v56
	s_waitcnt vmcnt(8)
	v_mul_f16_sdwa v174, v56, v140 dst_sel:DWORD dst_unused:UNUSED_PAD src0_sel:DWORD src1_sel:WORD_1
	s_waitcnt lgkmcnt(3)
	v_lshrrev_b32_e32 v175, 16, v123
	s_waitcnt vmcnt(7)
	v_mul_f16_sdwa v176, v123, v141 dst_sel:DWORD dst_unused:UNUSED_PAD src0_sel:DWORD src1_sel:WORD_1
	v_lshrrev_b32_e32 v177, 16, v124
	s_waitcnt vmcnt(6)
	v_mul_f16_sdwa v178, v124, v142 dst_sel:DWORD dst_unused:UNUSED_PAD src0_sel:DWORD src1_sel:WORD_1
	;; [unrolled: 7-line block ×3, first 2 shown]
	s_waitcnt lgkmcnt(1)
	v_lshrrev_b32_e32 v183, 16, v127
	s_waitcnt vmcnt(3)
	v_mul_f16_sdwa v185, v127, v145 dst_sel:DWORD dst_unused:UNUSED_PAD src0_sel:DWORD src1_sel:WORD_1
	v_fmac_f16_e32 v156, v155, v131
	v_lshrrev_b32_e32 v155, 16, v128
	v_fma_f16 v49, v49, v131, -v184
	s_waitcnt vmcnt(2)
	v_mul_f16_sdwa v131, v128, v146 dst_sel:DWORD dst_unused:UNUSED_PAD src0_sel:DWORD src1_sel:WORD_1
	v_fma_f16 v50, v50, v132, -v186
	s_waitcnt lgkmcnt(0)
	v_lshrrev_b32_e32 v184, 16, v129
	s_waitcnt vmcnt(1)
	v_mul_f16_sdwa v186, v129, v147 dst_sel:DWORD dst_unused:UNUSED_PAD src0_sel:DWORD src1_sel:WORD_1
	v_fmac_f16_e32 v158, v157, v132
	v_lshrrev_b32_e32 v132, 16, v130
	s_waitcnt vmcnt(0)
	v_mul_f16_sdwa v157, v130, v148 dst_sel:DWORD dst_unused:UNUSED_PAD src0_sel:DWORD src1_sel:WORD_1
	v_fmac_f16_e32 v161, v159, v133
	v_mul_f16_sdwa v159, v159, v133 dst_sel:DWORD dst_unused:UNUSED_PAD src0_sel:DWORD src1_sel:WORD_1
	v_fmac_f16_e32 v162, v160, v134
	;; [unrolled: 2-line block ×16, first 2 shown]
	v_mul_f16_sdwa v132, v132, v148 dst_sel:DWORD dst_unused:UNUSED_PAD src0_sel:DWORD src1_sel:WORD_1
	v_fma_f16 v51, v51, v133, -v159
	v_fma_f16 v52, v52, v134, -v160
	;; [unrolled: 1-line block ×16, first 2 shown]
	v_pack_b32_f16 v49, v49, v156
	v_pack_b32_f16 v51, v51, v161
	v_pack_b32_f16 v50, v50, v158
	v_pack_b32_f16 v47, v47, v164
	v_pack_b32_f16 v52, v52, v162
	v_pack_b32_f16 v53, v53, v168
	v_pack_b32_f16 v48, v48, v166
	v_pack_b32_f16 v55, v55, v172
	v_pack_b32_f16 v54, v54, v170
	v_pack_b32_f16 v123, v123, v176
	v_pack_b32_f16 v56, v56, v174
	v_pack_b32_f16 v125, v125, v180
	v_pack_b32_f16 v124, v124, v178
	v_pack_b32_f16 v127, v127, v185
	v_pack_b32_f16 v126, v126, v182
	v_pack_b32_f16 v129, v129, v186
	v_pack_b32_f16 v128, v128, v131
	v_pack_b32_f16 v130, v130, v157
	ds_write2_b32 v149, v154, v49 offset0:32 offset1:192
	ds_write2_b32 v150, v50, v51 offset0:32 offset1:192
	;; [unrolled: 1-line block ×9, first 2 shown]
	ds_write_b32 v84, v130 offset:12160
	s_waitcnt lgkmcnt(0)
	s_barrier
	buffer_gl0_inv
	ds_read2_b32 v[49:50], v78 offset1:160
	ds_read2_b32 v[47:48], v73 offset1:160
	;; [unrolled: 1-line block ×5, first 2 shown]
	ds_read2_b32 v[123:124], v87 offset0:64 offset1:224
	ds_read2_b32 v[125:126], v89 offset0:64 offset1:224
	;; [unrolled: 1-line block ×5, first 2 shown]
	s_waitcnt lgkmcnt(0)
	s_barrier
	buffer_gl0_inv
	v_sub_f16_sdwa v138, v49, v47 dst_sel:DWORD dst_unused:UNUSED_PAD src0_sel:WORD_1 src1_sel:WORD_1
	v_add_f16_sdwa v136, v55, v47 dst_sel:DWORD dst_unused:UNUSED_PAD src0_sel:WORD_1 src1_sel:WORD_1
	v_sub_f16_e32 v134, v51, v55
	v_sub_f16_sdwa v137, v51, v55 dst_sel:DWORD dst_unused:UNUSED_PAD src0_sel:WORD_1 src1_sel:WORD_1
	v_add_f16_e32 v139, v55, v47
	v_sub_f16_sdwa v141, v55, v47 dst_sel:DWORD dst_unused:UNUSED_PAD src0_sel:WORD_1 src1_sel:WORD_1
	v_sub_f16_e32 v143, v55, v47
	v_sub_f16_e32 v144, v55, v51
	v_sub_f16_sdwa v145, v55, v51 dst_sel:DWORD dst_unused:UNUSED_PAD src0_sel:WORD_1 src1_sel:WORD_1
	v_pk_add_f16 v55, v53, v55
	v_add_f16_sdwa v135, v51, v49 dst_sel:DWORD dst_unused:UNUSED_PAD src0_sel:WORD_1 src1_sel:WORD_1
	v_sub_f16_sdwa v140, v51, v49 dst_sel:DWORD dst_unused:UNUSED_PAD src0_sel:WORD_1 src1_sel:WORD_1
	v_sub_f16_e32 v142, v51, v49
	v_add_f16_e32 v146, v51, v49
	v_pk_add_f16 v147, v54, v56
	v_pk_add_f16 v165, v125, v123
	v_add_f16_e32 v174, v127, v129
	v_add_f16_e32 v175, v128, v130
	;; [unrolled: 1-line block ×3, first 2 shown]
	v_pk_add_f16 v51, v55, v51
	v_add_f16_e32 v55, v124, v132
	v_add_f16_e32 v148, v52, v50
	v_add_f16_e32 v157, v56, v48
	v_pk_add_f16 v166, v126, v124
	v_add_f16_sdwa v168, v127, v129 dst_sel:DWORD dst_unused:UNUSED_PAD src0_sel:WORD_1 src1_sel:WORD_1
	v_add_f16_sdwa v182, v123, v131 dst_sel:DWORD dst_unused:UNUSED_PAD src0_sel:WORD_1 src1_sel:WORD_1
	v_lshrrev_b32_e32 v187, 16, v125
	v_sub_f16_sdwa v149, v52, v50 dst_sel:DWORD dst_unused:UNUSED_PAD src0_sel:WORD_1 src1_sel:WORD_1
	v_sub_f16_e32 v150, v56, v52
	v_sub_f16_e32 v151, v52, v56
	v_add_f16_sdwa v152, v52, v50 dst_sel:DWORD dst_unused:UNUSED_PAD src0_sel:WORD_1 src1_sel:WORD_1
	v_sub_f16_e32 v153, v52, v50
	v_sub_f16_sdwa v154, v56, v52 dst_sel:DWORD dst_unused:UNUSED_PAD src0_sel:WORD_1 src1_sel:WORD_1
	v_sub_f16_sdwa v155, v52, v56 dst_sel:DWORD dst_unused:UNUSED_PAD src0_sel:WORD_1 src1_sel:WORD_1
	v_sub_f16_e32 v159, v47, v49
	v_sub_f16_e32 v167, v127, v123
	v_sub_f16_sdwa v169, v127, v123 dst_sel:DWORD dst_unused:UNUSED_PAD src0_sel:WORD_1 src1_sel:WORD_1
	v_sub_f16_sdwa v170, v127, v129 dst_sel:DWORD dst_unused:UNUSED_PAD src0_sel:WORD_1 src1_sel:WORD_1
	v_sub_f16_e32 v171, v127, v129
	v_sub_f16_e32 v172, v123, v127
	v_sub_f16_sdwa v173, v123, v127 dst_sel:DWORD dst_unused:UNUSED_PAD src0_sel:WORD_1 src1_sel:WORD_1
	v_sub_f16_e32 v177, v124, v128
	v_sub_f16_e32 v178, v128, v124
	v_add_f16_sdwa v179, v128, v130 dst_sel:DWORD dst_unused:UNUSED_PAD src0_sel:WORD_1 src1_sel:WORD_1
	v_sub_f16_sdwa v180, v124, v128 dst_sel:DWORD dst_unused:UNUSED_PAD src0_sel:WORD_1 src1_sel:WORD_1
	v_sub_f16_sdwa v181, v128, v124 dst_sel:DWORD dst_unused:UNUSED_PAD src0_sel:WORD_1 src1_sel:WORD_1
	;; [unrolled: 1-line block ×3, first 2 shown]
	v_pk_add_f16 v52, v147, v52
	v_sub_f16_e32 v147, v124, v132
	v_add_f16_sdwa v124, v124, v132 dst_sel:DWORD dst_unused:UNUSED_PAD src0_sel:WORD_1 src1_sel:WORD_1
	v_pk_add_f16 v127, v165, v127
	v_sub_f16_e32 v165, v129, v131
	v_fma_f16 v183, -0.5, v183, v125
	v_fma_f16 v125, -0.5, v174, v125
	v_fma_f16 v174, -0.5, v175, v126
	v_fma_f16 v55, -0.5, v55, v126
	v_lshrrev_b32_e32 v126, 16, v126
	v_sub_f16_e32 v133, v49, v47
	v_sub_f16_sdwa v156, v56, v48 dst_sel:DWORD dst_unused:UNUSED_PAD src0_sel:WORD_1 src1_sel:WORD_1
	v_sub_f16_e32 v158, v56, v48
	v_add_f16_sdwa v56, v56, v48 dst_sel:DWORD dst_unused:UNUSED_PAD src0_sel:WORD_1 src1_sel:WORD_1
	v_sub_f16_e32 v161, v48, v50
	v_sub_f16_sdwa v164, v50, v48 dst_sel:DWORD dst_unused:UNUSED_PAD src0_sel:WORD_1 src1_sel:WORD_1
	v_sub_f16_sdwa v176, v128, v130 dst_sel:DWORD dst_unused:UNUSED_PAD src0_sel:WORD_1 src1_sel:WORD_1
	;; [unrolled: 1-line block ×3, first 2 shown]
	v_sub_f16_e32 v123, v123, v131
	v_sub_f16_e32 v186, v128, v130
	v_pk_add_f16 v128, v166, v128
	v_lshrrev_b32_e32 v166, 16, v53
	v_fma_f16 v139, -0.5, v139, v53
	v_fma_f16 v53, -0.5, v146, v53
	v_fma_f16 v146, -0.5, v148, v54
	v_fma_f16 v148, -0.5, v157, v54
	v_lshrrev_b32_e32 v157, 16, v54
	v_sub_f16_sdwa v54, v129, v131 dst_sel:DWORD dst_unused:UNUSED_PAD src0_sel:WORD_1 src1_sel:WORD_1
	v_fma_f16 v168, -0.5, v168, v187
	v_fmac_f16_e32 v187, -0.5, v182
	v_add_f16_e32 v137, v137, v138
	v_sub_f16_e32 v138, v132, v130
	v_add_f16_e32 v165, v167, v165
	v_sub_f16_e32 v167, v130, v132
	v_add_f16_e32 v144, v144, v159
	v_fma_f16 v159, -0.5, v179, v126
	v_fmac_f16_e32 v126, -0.5, v124
	v_sub_f16_e32 v162, v50, v48
	v_sub_f16_sdwa v163, v48, v50 dst_sel:DWORD dst_unused:UNUSED_PAD src0_sel:WORD_1 src1_sel:WORD_1
	v_add_f16_e32 v133, v134, v133
	v_sub_f16_e32 v134, v131, v129
	v_fma_f16 v135, -0.5, v135, v166
	v_fmac_f16_e32 v166, -0.5, v136
	v_sub_f16_sdwa v136, v131, v129 dst_sel:DWORD dst_unused:UNUSED_PAD src0_sel:WORD_1 src1_sel:WORD_1
	v_sub_f16_sdwa v175, v132, v130 dst_sel:DWORD dst_unused:UNUSED_PAD src0_sel:WORD_1 src1_sel:WORD_1
	v_add_f16_e32 v54, v169, v54
	v_sub_f16_sdwa v169, v130, v132 dst_sel:DWORD dst_unused:UNUSED_PAD src0_sel:WORD_1 src1_sel:WORD_1
	v_fma_f16 v152, -0.5, v152, v157
	v_fmac_f16_e32 v157, -0.5, v56
	v_add_f16_e32 v56, v155, v164
	v_add_f16_e32 v150, v150, v161
	v_pk_add_f16 v50, v52, v50
	v_pk_add_f16 v52, v128, v130
	v_fmamk_f16 v130, v171, 0xbb9c, v187
	v_fmac_f16_e32 v187, 0x3b9c, v171
	v_fmamk_f16 v161, v123, 0x3b9c, v168
	v_fmamk_f16 v164, v184, 0xbb9c, v125
	v_fmac_f16_e32 v168, 0xbb9c, v123
	v_sub_f16_sdwa v160, v47, v49 dst_sel:DWORD dst_unused:UNUSED_PAD src0_sel:WORD_1 src1_sel:WORD_1
	v_add_f16_e32 v155, v178, v167
	v_add_f16_e32 v138, v177, v138
	v_fmamk_f16 v177, v185, 0xbb9c, v174
	v_fmamk_f16 v178, v186, 0xbb9c, v126
	v_fmac_f16_e32 v126, 0x3b9c, v186
	v_fmamk_f16 v179, v147, 0x3b9c, v159
	v_fmac_f16_e32 v159, 0xbb9c, v147
	v_add_f16_e32 v134, v172, v134
	v_add_f16_e32 v136, v173, v136
	v_pk_add_f16 v49, v51, v49
	v_pk_add_f16 v51, v127, v129
	v_fmamk_f16 v129, v170, 0x3b9c, v183
	v_fmac_f16_e32 v183, 0xbb9c, v170
	v_fmamk_f16 v172, v153, 0xbb9c, v157
	v_fmac_f16_e32 v157, 0x3b9c, v153
	v_fmac_f16_e32 v187, 0xb8b4, v123
	;; [unrolled: 1-line block ×7, first 2 shown]
	v_add_f16_e32 v145, v145, v160
	v_add_f16_e32 v124, v181, v169
	;; [unrolled: 1-line block ×3, first 2 shown]
	v_fmamk_f16 v127, v140, 0x3b9c, v139
	v_fmac_f16_e32 v139, 0xbb9c, v140
	v_fmamk_f16 v128, v142, 0xbb9c, v166
	v_fmac_f16_e32 v166, 0x3b9c, v142
	;; [unrolled: 2-line block ×3, first 2 shown]
	v_fmac_f16_e32 v174, 0x3b9c, v185
	v_fmac_f16_e32 v126, 0xb8b4, v147
	;; [unrolled: 1-line block ×6, first 2 shown]
	v_add_f16_e32 v151, v151, v162
	v_add_f16_e32 v154, v154, v163
	v_fmamk_f16 v162, v141, 0xbb9c, v53
	v_fmamk_f16 v163, v143, 0x3b9c, v135
	v_pk_add_f16 v49, v49, v47
	v_pk_add_f16 v48, v50, v48
	;; [unrolled: 1-line block ×4, first 2 shown]
	v_fmac_f16_e32 v129, 0xb8b4, v184
	v_fmac_f16_e32 v183, 0x38b4, v184
	;; [unrolled: 1-line block ×12, first 2 shown]
	v_fmamk_f16 v167, v149, 0x3b9c, v148
	v_fmac_f16_e32 v148, 0xbb9c, v149
	v_fmamk_f16 v169, v156, 0xbb9c, v146
	v_fmac_f16_e32 v146, 0x3b9c, v156
	;; [unrolled: 2-line block ×3, first 2 shown]
	v_fmac_f16_e32 v127, 0xb8b4, v141
	v_fmac_f16_e32 v139, 0x38b4, v141
	;; [unrolled: 1-line block ×18, first 2 shown]
	v_pk_add_f16 v47, v49, v50
	v_pk_add_f16 v50, v49, v50 neg_lo:[0,1] neg_hi:[0,1]
	v_pk_add_f16 v51, v48, v52
	v_pk_add_f16 v54, v48, v52 neg_lo:[0,1] neg_hi:[0,1]
	v_mul_f16_e32 v48, 0xbb9c, v187
	v_mul_f16_e32 v49, 0xb4f2, v187
	;; [unrolled: 1-line block ×6, first 2 shown]
	v_fmac_f16_e32 v53, 0x38b4, v140
	v_fmac_f16_e32 v135, 0xb8b4, v142
	;; [unrolled: 1-line block ×3, first 2 shown]
	v_mul_f16_e32 v130, 0xb8b4, v168
	v_mul_f16_e32 v131, 0xba79, v168
	v_fmac_f16_e32 v167, 0xb8b4, v156
	v_fmac_f16_e32 v148, 0x38b4, v156
	;; [unrolled: 1-line block ×13, first 2 shown]
	v_mul_f16_e32 v132, 0xbb9c, v126
	v_mul_f16_e32 v126, 0xb4f2, v126
	;; [unrolled: 1-line block ×8, first 2 shown]
	v_fmac_f16_e32 v162, 0x34f2, v144
	v_fmac_f16_e32 v163, 0x34f2, v145
	v_fmac_f16_e32 v48, 0xb4f2, v183
	v_fmac_f16_e32 v49, 0x3b9c, v183
	v_fmac_f16_e32 v52, 0x34f2, v129
	v_fmac_f16_e32 v56, 0x3b9c, v129
	v_fmac_f16_e32 v123, 0x3a79, v164
	v_fmac_f16_e32 v124, 0x3a79, v161
	v_fmac_f16_e32 v53, 0x34f2, v144
	v_fmac_f16_e32 v135, 0x34f2, v145
	v_fmac_f16_e32 v130, 0xba79, v125
	v_fmac_f16_e32 v131, 0x38b4, v125
	v_fmac_f16_e32 v167, 0x34f2, v151
	v_fmac_f16_e32 v148, 0x34f2, v151
	v_fmac_f16_e32 v169, 0x34f2, v150
	v_fmac_f16_e32 v146, 0x34f2, v150
	v_fmac_f16_e32 v173, 0x34f2, v154
	v_fmac_f16_e32 v152, 0x34f2, v154
	v_fmac_f16_e32 v132, 0xb4f2, v55
	v_fmac_f16_e32 v126, 0x3b9c, v55
	v_fmac_f16_e32 v133, 0x34f2, v175
	v_fmac_f16_e32 v134, 0x3b9c, v175
	v_fmac_f16_e32 v136, 0x3a79, v177
	v_fmac_f16_e32 v137, 0x3a79, v179
	v_fmac_f16_e32 v138, 0xba79, v174
	v_fmac_f16_e32 v140, 0x38b4, v174
	v_add_f16_e32 v55, v139, v48
	v_add_f16_e32 v125, v166, v49
	;; [unrolled: 1-line block ×5, first 2 shown]
	v_sub_f16_e32 v52, v127, v52
	v_sub_f16_e32 v127, v128, v56
	v_add_f16_e32 v128, v163, v124
	v_sub_f16_e32 v123, v162, v123
	v_sub_f16_e32 v143, v163, v124
	v_add_f16_e32 v144, v53, v130
	v_sub_f16_e32 v53, v53, v130
	v_add_f16_e32 v130, v135, v131
	v_sub_f16_e32 v139, v139, v48
	v_sub_f16_e32 v131, v135, v131
	;; [unrolled: 1-line block ×3, first 2 shown]
	v_add_f16_e32 v145, v169, v136
	v_add_f16_e32 v147, v167, v133
	v_add_f16_e32 v149, v172, v134
	v_add_f16_e32 v150, v173, v137
	v_add_f16_e32 v151, v148, v132
	v_sub_f16_e32 v148, v148, v132
	v_add_f16_e32 v132, v146, v138
	v_sub_f16_e32 v138, v146, v138
	v_add_f16_e32 v146, v152, v140
	;; [unrolled: 2-line block ×3, first 2 shown]
	v_sub_f16_e32 v136, v169, v136
	v_sub_f16_e32 v133, v167, v133
	;; [unrolled: 1-line block ×5, first 2 shown]
	v_pack_b32_f16 v56, v55, v125
	v_pack_b32_f16 v55, v129, v141
	;; [unrolled: 1-line block ×16, first 2 shown]
	ds_write2_b64 v91, v[47:48], v[55:56] offset1:1
	ds_write2_b64 v91, v[49:50], v[123:124] offset0:2 offset1:3
	ds_write_b64 v91, v[125:126] offset:32
	ds_write2_b64 v96, v[51:52], v[127:128] offset1:1
	ds_write2_b64 v96, v[53:54], v[129:130] offset0:2 offset1:3
	ds_write_b64 v96, v[131:132] offset:32
	s_waitcnt lgkmcnt(0)
	s_barrier
	buffer_gl0_inv
	ds_read2_b32 v[132:133], v89 offset0:64 offset1:224
	ds_read2_b32 v[134:135], v88 offset1:160
	ds_read2_b32 v[136:137], v87 offset0:64 offset1:224
	ds_read2_b32 v[138:139], v81 offset1:160
	ds_read2_b32 v[140:141], v83 offset0:64 offset1:224
	ds_read2_b32 v[142:143], v78 offset1:160
	ds_read2_b32 v[144:145], v76 offset0:64 offset1:224
	ds_read2_b32 v[146:147], v73 offset1:160
	ds_read2_b32 v[47:48], v71 offset0:64 offset1:224
	ds_read2_b32 v[49:50], v84 offset1:160
	s_waitcnt lgkmcnt(0)
	s_barrier
	buffer_gl0_inv
	v_lshrrev_b32_e32 v51, 16, v132
	v_mul_f16_sdwa v52, v8, v132 dst_sel:DWORD dst_unused:UNUSED_PAD src0_sel:WORD_1 src1_sel:DWORD
	v_lshrrev_b32_e32 v53, 16, v134
	v_mul_f16_sdwa v54, v9, v134 dst_sel:DWORD dst_unused:UNUSED_PAD src0_sel:WORD_1 src1_sel:DWORD
	;; [unrolled: 2-line block ×12, first 2 shown]
	v_lshrrev_b32_e32 v159, 16, v141
	v_lshrrev_b32_e32 v161, 16, v143
	;; [unrolled: 1-line block ×4, first 2 shown]
	v_mul_f16_sdwa v168, v98, v47 dst_sel:DWORD dst_unused:UNUSED_PAD src0_sel:WORD_1 src1_sel:DWORD
	v_mul_f16_sdwa v160, v12, v141 dst_sel:DWORD dst_unused:UNUSED_PAD src0_sel:WORD_1 src1_sel:DWORD
	;; [unrolled: 1-line block ×4, first 2 shown]
	v_lshrrev_b32_e32 v131, 16, v49
	v_fma_f16 v169, v8, v51, -v52
	v_mul_f16_sdwa v170, v8, v51 dst_sel:DWORD dst_unused:UNUSED_PAD src0_sel:WORD_1 src1_sel:DWORD
	v_fma_f16 v171, v9, v53, -v54
	v_mul_f16_sdwa v172, v9, v53 dst_sel:DWORD dst_unused:UNUSED_PAD src0_sel:WORD_1 src1_sel:DWORD
	;; [unrolled: 2-line block ×4, first 2 shown]
	v_mul_f16_sdwa v51, v4, v124 dst_sel:DWORD dst_unused:UNUSED_PAD src0_sel:WORD_1 src1_sel:DWORD
	v_mul_f16_sdwa v125, v5, v128 dst_sel:DWORD dst_unused:UNUSED_PAD src0_sel:WORD_1 src1_sel:DWORD
	;; [unrolled: 1-line block ×3, first 2 shown]
	v_fma_f16 v52, v4, v124, -v127
	v_fma_f16 v53, v5, v128, -v129
	;; [unrolled: 1-line block ×5, first 2 shown]
	v_mul_f16_sdwa v149, v0, v151 dst_sel:DWORD dst_unused:UNUSED_PAD src0_sel:WORD_1 src1_sel:DWORD
	v_fma_f16 v150, v1, v153, -v154
	v_mul_f16_sdwa v151, v1, v153 dst_sel:DWORD dst_unused:UNUSED_PAD src0_sel:WORD_1 src1_sel:DWORD
	v_fma_f16 v152, v2, v155, -v156
	;; [unrolled: 2-line block ×3, first 2 shown]
	v_mul_f16_sdwa v155, v3, v157 dst_sel:DWORD dst_unused:UNUSED_PAD src0_sel:WORD_1 src1_sel:DWORD
	v_mul_f16_sdwa v127, v12, v159 dst_sel:DWORD dst_unused:UNUSED_PAD src0_sel:WORD_1 src1_sel:DWORD
	;; [unrolled: 1-line block ×4, first 2 shown]
	v_fma_f16 v156, v98, v167, -v168
	v_mul_f16_sdwa v157, v98, v167 dst_sel:DWORD dst_unused:UNUSED_PAD src0_sel:WORD_1 src1_sel:DWORD
	v_fma_f16 v124, v12, v159, -v160
	v_fma_f16 v55, v13, v161, -v162
	;; [unrolled: 1-line block ×3, first 2 shown]
	v_fmac_f16_e32 v172, v9, v134
	v_fmac_f16_e32 v174, v10, v136
	;; [unrolled: 1-line block ×13, first 2 shown]
	v_sub_f16_e32 v0, v171, v175
	v_sub_f16_e32 v1, v154, v150
	;; [unrolled: 1-line block ×4, first 2 shown]
	v_add_f16_e32 v4, v148, v152
	v_add_f16_e32 v7, v131, v171
	;; [unrolled: 1-line block ×3, first 2 shown]
	v_sub_f16_e32 v12, v175, v171
	v_add_f16_e32 v13, v171, v154
	v_sub_f16_e32 v14, v150, v154
	v_mul_f16_sdwa v123, v6, v130 dst_sel:DWORD dst_unused:UNUSED_PAD src0_sel:WORD_1 src1_sel:DWORD
	v_fmac_f16_e32 v170, v8, v132
	v_add_f16_e32 v47, v173, v156
	v_add_f16_e32 v0, v0, v1
	;; [unrolled: 1-line block ×3, first 2 shown]
	v_sub_f16_e32 v2, v172, v176
	v_add_f16_e32 v3, v7, v175
	v_sub_f16_e32 v7, v155, v151
	v_sub_f16_e32 v132, v174, v149
	v_fma_f16 v9, -0.5, v9, v131
	v_fmac_f16_e32 v131, -0.5, v13
	v_sub_f16_e32 v13, v157, v153
	v_fma_f16 v4, -0.5, v4, v169
	v_add_f16_e32 v12, v12, v14
	v_add_f16_e32 v14, v149, v153
	v_sub_f16_e32 v133, v176, v172
	v_sub_f16_e32 v134, v151, v155
	;; [unrolled: 1-line block ×3, first 2 shown]
	v_fmac_f16_e32 v125, v5, v135
	v_fmac_f16_e32 v123, v6, v137
	v_sub_f16_e32 v5, v173, v156
	v_add_f16_e32 v8, v169, v173
	v_fmac_f16_e32 v169, -0.5, v47
	v_add_f16_e32 v47, v49, v172
	v_add_f16_e32 v135, v174, v157
	;; [unrolled: 1-line block ×3, first 2 shown]
	v_sub_f16_e32 v137, v149, v174
	v_sub_f16_e32 v138, v153, v157
	;; [unrolled: 1-line block ×3, first 2 shown]
	v_add_f16_e32 v141, v176, v151
	v_sub_f16_e32 v142, v176, v151
	v_add_f16_e32 v144, v172, v155
	v_add_f16_e32 v2, v2, v7
	;; [unrolled: 1-line block ×4, first 2 shown]
	v_fma_f16 v14, -0.5, v14, v170
	v_fmamk_f16 v134, v139, 0x3b9c, v4
	v_sub_f16_e32 v6, v148, v152
	v_sub_f16_e32 v11, v175, v150
	v_add_f16_e32 v8, v8, v148
	v_sub_f16_e32 v143, v172, v155
	v_fmac_f16_e32 v170, -0.5, v135
	v_add_f16_e32 v47, v47, v176
	v_add_f16_e32 v132, v136, v149
	v_add_f16_e32 v133, v137, v138
	v_fma_f16 v135, -0.5, v141, v49
	v_fmamk_f16 v136, v142, 0xbb9c, v131
	v_fmac_f16_e32 v131, 0x3b9c, v142
	v_fma_f16 v49, -0.5, v144, v49
	v_fmac_f16_e32 v134, 0x38b4, v140
	v_fmamk_f16 v138, v5, 0xbb9c, v14
	v_lshrrev_b32_e32 v165, 16, v147
	v_sub_f16_e32 v10, v171, v154
	v_add_f16_e32 v3, v3, v150
	v_add_f16_e32 v8, v8, v152
	;; [unrolled: 1-line block ×4, first 2 shown]
	v_fmac_f16_e32 v136, 0x38b4, v143
	v_fmac_f16_e32 v131, 0xb8b4, v143
	v_fmamk_f16 v141, v11, 0x3b9c, v49
	v_fmac_f16_e32 v49, 0xbb9c, v11
	v_fmac_f16_e32 v138, 0xb8b4, v6
	;; [unrolled: 1-line block ×3, first 2 shown]
	v_mul_f16_sdwa v166, v15, v147 dst_sel:DWORD dst_unused:UNUSED_PAD src0_sel:WORD_1 src1_sel:DWORD
	v_mul_f16_sdwa v130, v15, v165 dst_sel:DWORD dst_unused:UNUSED_PAD src0_sel:WORD_1 src1_sel:DWORD
	v_fmamk_f16 v137, v143, 0x3b9c, v9
	v_add_f16_e32 v3, v3, v154
	v_add_f16_e32 v8, v8, v156
	v_fmamk_f16 v144, v10, 0xbb9c, v135
	v_add_f16_e32 v47, v47, v155
	v_add_f16_e32 v132, v132, v157
	v_fmac_f16_e32 v136, 0x34f2, v12
	v_fmac_f16_e32 v131, 0x34f2, v12
	;; [unrolled: 1-line block ×5, first 2 shown]
	v_mul_f16_e32 v12, 0xb8b4, v134
	v_mul_f16_e32 v134, 0x3a79, v134
	v_fma_f16 v56, v15, v165, -v166
	v_fmac_f16_e32 v130, v15, v147
	v_sub_f16_e32 v15, v148, v173
	v_sub_f16_e32 v98, v152, v156
	v_add_f16_e32 v145, v3, v8
	v_fmac_f16_e32 v141, 0x34f2, v13
	v_fmac_f16_e32 v49, 0x34f2, v13
	v_add_f16_e32 v13, v47, v132
	v_fmac_f16_e32 v12, 0x3a79, v138
	v_fmac_f16_e32 v144, 0xb8b4, v11
	;; [unrolled: 1-line block ×4, first 2 shown]
	v_fmamk_f16 v138, v140, 0xbb9c, v169
	v_fmac_f16_e32 v169, 0x3b9c, v140
	v_fmac_f16_e32 v4, 0xbb9c, v139
	v_pack_b32_f16 v13, v13, v145
	v_fmac_f16_e32 v144, 0x34f2, v2
	v_fmac_f16_e32 v137, 0x34f2, v0
	v_fmamk_f16 v145, v6, 0x3b9c, v170
	v_add_f16_e32 v15, v15, v98
	v_fmac_f16_e32 v170, 0xbb9c, v6
	v_fmac_f16_e32 v169, 0xb8b4, v139
	;; [unrolled: 1-line block ×5, first 2 shown]
	v_add_f16_e32 v98, v144, v12
	v_fmac_f16_e32 v145, 0xb8b4, v5
	v_add_f16_e32 v146, v137, v134
	v_fmac_f16_e32 v170, 0x38b4, v5
	v_fmac_f16_e32 v169, 0x34f2, v15
	v_fmac_f16_e32 v135, 0x3b9c, v10
	v_fmac_f16_e32 v9, 0xbb9c, v143
	v_fmac_f16_e32 v14, 0x38b4, v6
	v_fmac_f16_e32 v4, 0x34f2, v1
	v_fmac_f16_e32 v138, 0x34f2, v15
	v_fmac_f16_e32 v145, 0x34f2, v133
	v_pack_b32_f16 v15, v98, v146
	v_fmac_f16_e32 v170, 0x34f2, v133
	v_mul_f16_e32 v98, 0xbb9c, v169
	v_mul_f16_e32 v133, 0xb4f2, v169
	v_fmac_f16_e32 v135, 0x38b4, v11
	v_fmac_f16_e32 v9, 0xb8b4, v142
	;; [unrolled: 1-line block ×3, first 2 shown]
	v_mul_f16_e32 v5, 0xb8b4, v4
	v_mul_f16_e32 v4, 0xba79, v4
	;; [unrolled: 1-line block ×4, first 2 shown]
	v_fmac_f16_e32 v98, 0xb4f2, v170
	v_fmac_f16_e32 v133, 0x3b9c, v170
	;; [unrolled: 1-line block ×8, first 2 shown]
	v_add_f16_e32 v0, v49, v98
	v_add_f16_e32 v2, v131, v133
	v_sub_f16_e32 v7, v47, v132
	v_add_f16_e32 v10, v135, v5
	v_add_f16_e32 v11, v9, v4
	v_sub_f16_e32 v3, v3, v8
	v_add_f16_e32 v1, v141, v147
	v_add_f16_e32 v6, v136, v138
	v_pack_b32_f16 v0, v0, v2
	v_pack_b32_f16 v2, v10, v11
	;; [unrolled: 1-line block ×3, first 2 shown]
	v_mul_f16_sdwa v8, v92, v48 dst_sel:DWORD dst_unused:UNUSED_PAD src0_sel:WORD_1 src1_sel:DWORD
	v_pack_b32_f16 v1, v1, v6
	ds_write2_b32 v90, v13, v15 offset1:10
	ds_write2_b32 v90, v1, v0 offset0:20 offset1:30
	ds_write2_b32 v90, v2, v3 offset0:40 offset1:50
	v_lshrrev_b32_e32 v2, 16, v48
	v_sub_f16_e32 v0, v144, v12
	v_sub_f16_e32 v1, v137, v134
	;; [unrolled: 1-line block ×3, first 2 shown]
	v_add_f16_e32 v13, v127, v128
	v_mul_f16_sdwa v7, v92, v2 dst_sel:DWORD dst_unused:UNUSED_PAD src0_sel:WORD_1 src1_sel:DWORD
	v_fma_f16 v2, v92, v2, -v8
	v_pack_b32_f16 v0, v0, v1
	v_sub_f16_e32 v1, v49, v98
	v_add_f16_e32 v132, v52, v96
	v_fmac_f16_e32 v7, v92, v48
	v_add_f16_e32 v48, v124, v91
	v_add_f16_e32 v131, v96, v2
	v_sub_f16_e32 v92, v127, v123
	v_sub_f16_e32 v133, v124, v96
	v_add_f16_e32 v47, v123, v7
	v_sub_f16_e32 v98, v128, v7
	v_fma_f16 v48, -0.5, v48, v52
	v_sub_f16_e32 v134, v91, v2
	v_fmac_f16_e32 v52, -0.5, v131
	v_sub_f16_e32 v131, v127, v128
	v_sub_f16_e32 v3, v141, v147
	;; [unrolled: 1-line block ×4, first 2 shown]
	v_add_f16_e32 v10, v126, v129
	v_add_f16_e32 v8, v125, v130
	;; [unrolled: 1-line block ×3, first 2 shown]
	v_fma_f16 v13, -0.5, v13, v51
	v_add_f16_e32 v49, v51, v123
	v_fmac_f16_e32 v51, -0.5, v47
	v_add_f16_e32 v47, v92, v98
	v_add_f16_e32 v92, v133, v134
	v_sub_f16_e32 v98, v124, v91
	v_fmamk_f16 v133, v131, 0xbb9c, v52
	v_fmac_f16_e32 v52, 0x3b9c, v131
	v_sub_f16_e32 v134, v123, v7
	v_sub_f16_e32 v4, v9, v4
	v_fma_f16 v10, -0.5, v10, v50
	v_lshrrev_b32_e32 v12, 16, v50
	v_fmac_f16_e32 v50, -0.5, v8
	v_sub_f16_e32 v135, v54, v55
	v_fmamk_f16 v136, v98, 0x3b9c, v51
	v_fmac_f16_e32 v51, 0xbb9c, v98
	v_sub_f16_e32 v137, v96, v2
	v_fmac_f16_e32 v52, 0xb8b4, v134
	v_pack_b32_f16 v3, v3, v6
	v_pack_b32_f16 v1, v1, v11
	;; [unrolled: 1-line block ×3, first 2 shown]
	v_sub_f16_e32 v5, v125, v126
	v_add_f16_e32 v6, v14, v126
	v_sub_f16_e32 v11, v130, v129
	v_sub_f16_e32 v8, v126, v125
	v_sub_f16_e32 v15, v129, v130
	v_fmamk_f16 v138, v135, 0x3b9c, v50
	v_fmac_f16_e32 v50, 0xbb9c, v135
	v_sub_f16_e32 v139, v53, v56
	v_fmac_f16_e32 v51, 0x38b4, v137
	v_fmac_f16_e32 v52, 0x34f2, v92
	ds_write2_b32 v90, v0, v3 offset0:60 offset1:70
	ds_write2_b32 v90, v1, v4 offset0:80 offset1:90
	v_add_f16_e32 v1, v6, v129
	v_add_f16_e32 v3, v5, v11
	v_sub_f16_e32 v4, v53, v54
	v_sub_f16_e32 v5, v56, v55
	v_add_f16_e32 v6, v49, v127
	v_add_f16_e32 v8, v8, v15
	v_fmac_f16_e32 v50, 0x38b4, v139
	v_fmac_f16_e32 v51, 0x34f2, v47
	v_mul_f16_e32 v9, 0xbb9c, v52
	v_add_f16_e32 v4, v4, v5
	v_add_f16_e32 v5, v6, v128
	v_sub_f16_e32 v6, v123, v127
	v_sub_f16_e32 v15, v7, v128
	v_fmac_f16_e32 v50, 0x34f2, v8
	v_fmac_f16_e32 v9, 0xb4f2, v51
	v_sub_f16_e32 v90, v2, v91
	v_sub_f16_e32 v49, v96, v124
	v_add_f16_e32 v6, v6, v15
	v_add_f16_e32 v15, v132, v124
	;; [unrolled: 1-line block ×3, first 2 shown]
	v_sub_f16_e32 v9, v50, v9
	v_add_f16_e32 v50, v53, v56
	v_add_f16_e32 v5, v5, v7
	;; [unrolled: 1-line block ×4, first 2 shown]
	v_fmamk_f16 v7, v134, 0x3b9c, v48
	v_add_f16_e32 v96, v12, v53
	v_sub_f16_e32 v14, v126, v129
	v_add_f16_e32 v2, v15, v2
	v_fma_f16 v15, -0.5, v91, v12
	v_fmac_f16_e32 v138, 0xb8b4, v139
	v_fmac_f16_e32 v12, -0.5, v50
	v_fmac_f16_e32 v48, 0xbb9c, v134
	v_fmac_f16_e32 v133, 0x38b4, v134
	v_sub_f16_e32 v11, v125, v130
	v_add_f16_e32 v49, v49, v90
	v_fmamk_f16 v90, v137, 0xbb9c, v13
	v_fmac_f16_e32 v7, 0x38b4, v131
	v_add_f16_e32 v96, v96, v54
	v_sub_f16_e32 v50, v54, v53
	v_sub_f16_e32 v53, v55, v56
	v_fmac_f16_e32 v138, 0x34f2, v8
	v_fmamk_f16 v8, v14, 0xbb9c, v12
	v_fmac_f16_e32 v12, 0x3b9c, v14
	v_fmac_f16_e32 v13, 0x3b9c, v137
	;; [unrolled: 1-line block ×7, first 2 shown]
	v_add_f16_e32 v96, v96, v55
	v_fmamk_f16 v123, v139, 0xbb9c, v10
	v_fmamk_f16 v124, v11, 0x3b9c, v15
	v_add_f16_e32 v50, v50, v53
	v_fmac_f16_e32 v8, 0x38b4, v11
	v_fmac_f16_e32 v12, 0xb8b4, v11
	;; [unrolled: 1-line block ×7, first 2 shown]
	v_mul_f16_e32 v47, 0xbb9c, v133
	v_mul_f16_e32 v53, 0x34f2, v133
	v_add_f16_e32 v1, v1, v130
	v_fmac_f16_e32 v90, 0x34f2, v6
	v_mul_f16_e32 v91, 0xb8b4, v7
	v_mul_f16_e32 v7, 0x3a79, v7
	v_add_f16_e32 v96, v96, v56
	v_fmac_f16_e32 v123, 0xb8b4, v135
	v_fmac_f16_e32 v124, 0x38b4, v14
	;; [unrolled: 1-line block ×4, first 2 shown]
	v_mul_f16_e32 v50, 0xb4f2, v52
	v_fmac_f16_e32 v10, 0x38b4, v135
	v_fmac_f16_e32 v15, 0xb8b4, v14
	;; [unrolled: 1-line block ×3, first 2 shown]
	v_mul_f16_e32 v6, 0xb8b4, v48
	v_mul_f16_e32 v11, 0xba79, v48
	v_fmac_f16_e32 v47, 0x34f2, v136
	v_fmac_f16_e32 v53, 0x3b9c, v136
	v_fmac_f16_e32 v91, 0x3a79, v90
	v_fmac_f16_e32 v7, 0x38b4, v90
	v_add_f16_e32 v90, v1, v5
	v_add_f16_e32 v125, v96, v2
	v_fmac_f16_e32 v123, 0x34f2, v3
	v_fmac_f16_e32 v124, 0x34f2, v4
	;; [unrolled: 1-line block ×7, first 2 shown]
	v_add_f16_e32 v14, v138, v47
	v_add_f16_e32 v3, v8, v53
	v_pack_b32_f16 v90, v90, v125
	v_add_f16_e32 v125, v123, v91
	v_add_f16_e32 v126, v124, v7
	;; [unrolled: 1-line block ×5, first 2 shown]
	v_sub_f16_e32 v1, v1, v5
	v_sub_f16_e32 v2, v96, v2
	v_pack_b32_f16 v3, v14, v3
	v_sub_f16_e32 v5, v123, v91
	v_sub_f16_e32 v14, v138, v47
	;; [unrolled: 1-line block ×7, first 2 shown]
	v_pack_b32_f16 v13, v125, v126
	v_pack_b32_f16 v0, v0, v4
	;; [unrolled: 1-line block ×8, first 2 shown]
	ds_write2_b32 v93, v90, v13 offset1:10
	ds_write2_b32 v93, v3, v0 offset0:20 offset1:30
	ds_write2_b32 v93, v4, v1 offset0:40 offset1:50
	;; [unrolled: 1-line block ×4, first 2 shown]
	s_waitcnt lgkmcnt(0)
	s_barrier
	buffer_gl0_inv
	ds_read2_b32 v[0:1], v87 offset0:64 offset1:224
	ds_read2_b32 v[2:3], v83 offset0:64 offset1:224
	ds_read2_b32 v[4:5], v73 offset1:160
	ds_read2_b32 v[6:7], v78 offset1:160
	s_waitcnt lgkmcnt(3)
	v_lshrrev_b32_e32 v8, 16, v0
	v_mul_f16_sdwa v9, v37, v0 dst_sel:DWORD dst_unused:UNUSED_PAD src0_sel:WORD_1 src1_sel:DWORD
	s_waitcnt lgkmcnt(2)
	v_lshrrev_b32_e32 v10, 16, v3
	v_mul_f16_sdwa v11, v38, v3 dst_sel:DWORD dst_unused:UNUSED_PAD src0_sel:WORD_1 src1_sel:DWORD
	;; [unrolled: 3-line block ×3, first 2 shown]
	v_mul_f16_sdwa v15, v37, v8 dst_sel:DWORD dst_unused:UNUSED_PAD src0_sel:WORD_1 src1_sel:DWORD
	v_fma_f16 v14, v37, v8, -v9
	v_fma_f16 v11, v38, v10, -v11
	v_mul_f16_sdwa v10, v38, v10 dst_sel:DWORD dst_unused:UNUSED_PAD src0_sel:WORD_1 src1_sel:DWORD
	v_fma_f16 v13, v39, v12, -v13
	v_lshrrev_b32_e32 v47, 16, v1
	v_mul_f16_sdwa v12, v39, v12 dst_sel:DWORD dst_unused:UNUSED_PAD src0_sel:WORD_1 src1_sel:DWORD
	v_fmac_f16_e32 v15, v37, v0
	v_lshrrev_b32_e32 v0, 16, v5
	ds_read2_b32 v[8:9], v81 offset1:160
	v_fmac_f16_e32 v10, v38, v3
	v_mul_f16_sdwa v37, v34, v47 dst_sel:DWORD dst_unused:UNUSED_PAD src0_sel:WORD_1 src1_sel:DWORD
	v_fmac_f16_e32 v12, v39, v4
	ds_read2_b32 v[3:4], v71 offset0:64 offset1:224
	v_mul_f16_sdwa v38, v36, v0 dst_sel:DWORD dst_unused:UNUSED_PAD src0_sel:WORD_1 src1_sel:DWORD
	s_waitcnt lgkmcnt(2)
	v_lshrrev_b32_e32 v39, 16, v6
	v_fmac_f16_e32 v37, v34, v1
	v_mul_f16_sdwa v1, v34, v1 dst_sel:DWORD dst_unused:UNUSED_PAD src0_sel:WORD_1 src1_sel:DWORD
	v_lshrrev_b32_e32 v48, 16, v7
	v_fmac_f16_e32 v38, v36, v5
	v_mul_f16_sdwa v5, v36, v5 dst_sel:DWORD dst_unused:UNUSED_PAD src0_sel:WORD_1 src1_sel:DWORD
	v_mul_f16_sdwa v49, v35, v6 dst_sel:DWORD dst_unused:UNUSED_PAD src0_sel:WORD_1 src1_sel:DWORD
	v_mul_f16_sdwa v50, v35, v39 dst_sel:DWORD dst_unused:UNUSED_PAD src0_sel:WORD_1 src1_sel:DWORD
	v_mul_f16_sdwa v51, v26, v48 dst_sel:DWORD dst_unused:UNUSED_PAD src0_sel:WORD_1 src1_sel:DWORD
	v_fma_f16 v34, v34, v47, -v1
	v_fma_f16 v36, v36, v0, -v5
	ds_read2_b32 v[0:1], v76 offset0:64 offset1:224
	v_fma_f16 v39, v35, v39, -v49
	v_fmac_f16_e32 v50, v35, v6
	v_fmac_f16_e32 v51, v26, v7
	v_mul_f16_sdwa v7, v26, v7 dst_sel:DWORD dst_unused:UNUSED_PAD src0_sel:WORD_1 src1_sel:DWORD
	s_waitcnt lgkmcnt(2)
	v_lshrrev_b32_e32 v35, 16, v8
	ds_read2_b32 v[5:6], v88 offset1:160
	v_mul_f16_sdwa v47, v25, v8 dst_sel:DWORD dst_unused:UNUSED_PAD src0_sel:WORD_1 src1_sel:DWORD
	s_waitcnt lgkmcnt(2)
	v_lshrrev_b32_e32 v49, 16, v3
	v_mul_f16_sdwa v52, v27, v3 dst_sel:DWORD dst_unused:UNUSED_PAD src0_sel:WORD_1 src1_sel:DWORD
	v_fma_f16 v26, v26, v48, -v7
	v_mul_f16_sdwa v48, v25, v35 dst_sel:DWORD dst_unused:UNUSED_PAD src0_sel:WORD_1 src1_sel:DWORD
	v_fma_f16 v35, v25, v35, -v47
	v_fma_f16 v47, v27, v49, -v52
	v_mul_f16_sdwa v49, v27, v49 dst_sel:DWORD dst_unused:UNUSED_PAD src0_sel:WORD_1 src1_sel:DWORD
	v_fmac_f16_e32 v48, v25, v8
	ds_read2_b32 v[7:8], v84 offset1:160
	v_lshrrev_b32_e32 v52, 16, v9
	v_lshrrev_b32_e32 v25, 16, v4
	v_fmac_f16_e32 v49, v27, v3
	v_lshrrev_b32_e32 v3, 16, v2
	s_waitcnt lgkmcnt(2)
	v_lshrrev_b32_e32 v54, 16, v1
	v_mul_f16_sdwa v53, v16, v52 dst_sel:DWORD dst_unused:UNUSED_PAD src0_sel:WORD_1 src1_sel:DWORD
	v_mul_f16_sdwa v27, v18, v25 dst_sel:DWORD dst_unused:UNUSED_PAD src0_sel:WORD_1 src1_sel:DWORD
	;; [unrolled: 1-line block ×4, first 2 shown]
	s_waitcnt lgkmcnt(1)
	v_lshrrev_b32_e32 v90, 16, v6
	v_mul_f16_sdwa v92, v19, v6 dst_sel:DWORD dst_unused:UNUSED_PAD src0_sel:WORD_1 src1_sel:DWORD
	v_fmac_f16_e32 v53, v16, v9
	v_fmac_f16_e32 v55, v20, v2
	v_mul_f16_sdwa v2, v20, v2 dst_sel:DWORD dst_unused:UNUSED_PAD src0_sel:WORD_1 src1_sel:DWORD
	v_fmac_f16_e32 v56, v21, v1
	v_mul_f16_sdwa v91, v19, v90 dst_sel:DWORD dst_unused:UNUSED_PAD src0_sel:WORD_1 src1_sel:DWORD
	v_mul_f16_sdwa v1, v21, v1 dst_sel:DWORD dst_unused:UNUSED_PAD src0_sel:WORD_1 src1_sel:DWORD
	;; [unrolled: 1-line block ×3, first 2 shown]
	v_fma_f16 v2, v20, v3, -v2
	s_waitcnt lgkmcnt(0)
	v_lshrrev_b32_e32 v3, 16, v7
	v_fmac_f16_e32 v91, v19, v6
	v_fma_f16 v1, v21, v54, -v1
	v_fma_f16 v6, v19, v90, -v92
	v_sub_f16_e32 v21, v7, v55
	v_sub_f16_e32 v2, v3, v2
	;; [unrolled: 1-line block ×3, first 2 shown]
	v_fmac_f16_e32 v27, v18, v4
	v_sub_f16_e32 v1, v6, v1
	v_mul_f16_sdwa v4, v18, v4 dst_sel:DWORD dst_unused:UNUSED_PAD src0_sel:WORD_1 src1_sel:DWORD
	v_fma_f16 v3, v3, 2.0, -v2
	v_fma_f16 v55, v91, 2.0, -v20
	;; [unrolled: 1-line block ×4, first 2 shown]
	v_sub_f16_e32 v20, v2, v20
	v_lshrrev_b32_e32 v19, 16, v0
	v_mul_f16_sdwa v54, v17, v0 dst_sel:DWORD dst_unused:UNUSED_PAD src0_sel:WORD_1 src1_sel:DWORD
	v_fma_f16 v9, v16, v52, -v9
	v_fma_f16 v4, v18, v25, -v4
	v_sub_f16_e32 v18, v7, v55
	v_sub_f16_e32 v6, v3, v6
	v_add_f16_e32 v25, v21, v1
	v_fma_f16 v52, v2, 2.0, -v20
	ds_read2_b32 v[1:2], v89 offset0:64 offset1:224
	v_fma_f16 v16, v17, v19, -v54
	v_mul_f16_sdwa v19, v17, v19 dst_sel:DWORD dst_unused:UNUSED_PAD src0_sel:WORD_1 src1_sel:DWORD
	v_fma_f16 v7, v7, 2.0, -v18
	v_fma_f16 v3, v3, 2.0, -v6
	v_lshrrev_b32_e32 v54, 16, v8
	v_fma_f16 v21, v21, 2.0, -v25
	v_fmac_f16_e32 v19, v17, v0
	s_waitcnt lgkmcnt(0)
	v_pack_b32_f16 v0, v7, v3
	v_sub_f16_e32 v7, v8, v10
	v_sub_f16_e32 v10, v54, v11
	;; [unrolled: 1-line block ×4, first 2 shown]
	v_pack_b32_f16 v3, v21, v52
	v_fma_f16 v8, v8, 2.0, -v7
	v_fma_f16 v13, v54, 2.0, -v10
	;; [unrolled: 1-line block ×4, first 2 shown]
	s_barrier
	buffer_gl0_inv
	ds_write2_b32 v99, v0, v3 offset1:100
	v_sub_f16_e32 v0, v8, v15
	v_sub_f16_e32 v3, v13, v14
	v_lshrrev_b32_e32 v14, 16, v1
	v_pack_b32_f16 v6, v18, v6
	v_pack_b32_f16 v15, v25, v20
	v_sub_f16_e32 v18, v37, v38
	v_sub_f16_e32 v20, v1, v50
	;; [unrolled: 1-line block ×4, first 2 shown]
	v_add_f16_e32 v12, v7, v12
	v_sub_f16_e32 v11, v10, v11
	v_fma_f16 v25, v37, 2.0, -v18
	v_fma_f16 v14, v14, 2.0, -v17
	;; [unrolled: 1-line block ×8, first 2 shown]
	ds_write2_b32 v100, v6, v15 offset0:72 offset1:172
	v_sub_f16_e32 v6, v1, v25
	v_sub_f16_e32 v15, v14, v34
	v_pack_b32_f16 v11, v12, v11
	v_lshrrev_b32_e32 v12, 16, v2
	v_pack_b32_f16 v8, v8, v13
	v_pack_b32_f16 v7, v7, v10
	;; [unrolled: 1-line block ×3, first 2 shown]
	v_fma_f16 v1, v1, 2.0, -v6
	v_fma_f16 v3, v14, 2.0, -v15
	v_add_f16_e32 v10, v20, v21
	v_sub_f16_e32 v13, v17, v18
	v_sub_f16_e32 v18, v12, v26
	;; [unrolled: 1-line block ×3, first 2 shown]
	v_pack_b32_f16 v1, v1, v3
	v_fma_f16 v3, v20, 2.0, -v10
	v_fma_f16 v14, v17, 2.0, -v13
	v_sub_f16_e32 v17, v2, v51
	v_sub_f16_e32 v20, v48, v49
	v_fma_f16 v12, v12, 2.0, -v18
	v_fma_f16 v25, v35, 2.0, -v21
	v_pack_b32_f16 v3, v3, v14
	v_fma_f16 v2, v2, 2.0, -v17
	v_fma_f16 v14, v48, 2.0, -v20
	ds_write2_b32 v95, v8, v7 offset1:100
	ds_write2_b32 v97, v0, v11 offset0:72 offset1:172
	ds_write2_b32 v103, v1, v3 offset1:100
	v_sub_f16_e32 v1, v12, v25
	v_pack_b32_f16 v3, v6, v15
	v_lshrrev_b32_e32 v6, 16, v5
	v_sub_f16_e32 v0, v2, v14
	v_pack_b32_f16 v7, v10, v13
	v_fma_f16 v8, v12, 2.0, -v1
	v_sub_f16_e32 v10, v5, v19
	v_sub_f16_e32 v11, v6, v16
	;; [unrolled: 1-line block ×4, first 2 shown]
	v_fma_f16 v2, v2, 2.0, -v0
	v_fma_f16 v5, v5, 2.0, -v10
	;; [unrolled: 1-line block ×5, first 2 shown]
	v_add_f16_e32 v13, v17, v21
	v_pack_b32_f16 v2, v2, v8
	v_sub_f16_e32 v8, v18, v20
	v_sub_f16_e32 v14, v5, v14
	;; [unrolled: 1-line block ×3, first 2 shown]
	v_add_f16_e32 v4, v10, v4
	v_sub_f16_e32 v12, v11, v12
	v_fma_f16 v15, v17, 2.0, -v13
	v_fma_f16 v16, v18, 2.0, -v8
	;; [unrolled: 1-line block ×6, first 2 shown]
	v_pack_b32_f16 v15, v15, v16
	v_pack_b32_f16 v0, v0, v1
	;; [unrolled: 1-line block ×7, first 2 shown]
	ds_write2_b32 v101, v3, v7 offset0:72 offset1:172
	ds_write2_b32 v105, v2, v15 offset1:100
	ds_write2_b32 v107, v0, v1 offset0:72 offset1:172
	ds_write2_b32 v106, v5, v6 offset1:100
	ds_write2_b32 v109, v8, v4 offset0:72 offset1:172
	s_waitcnt lgkmcnt(0)
	s_barrier
	buffer_gl0_inv
	ds_read2_b32 v[0:1], v87 offset0:64 offset1:224
	ds_read2_b32 v[2:3], v83 offset0:64 offset1:224
	ds_read2_b32 v[4:5], v73 offset1:160
	s_waitcnt lgkmcnt(2)
	v_lshrrev_b32_e32 v8, 16, v0
	v_mul_f16_sdwa v6, v43, v0 dst_sel:DWORD dst_unused:UNUSED_PAD src0_sel:WORD_1 src1_sel:DWORD
	s_waitcnt lgkmcnt(1)
	v_lshrrev_b32_e32 v9, 16, v3
	v_mul_f16_sdwa v11, v44, v3 dst_sel:DWORD dst_unused:UNUSED_PAD src0_sel:WORD_1 src1_sel:DWORD
	v_lshrrev_b32_e32 v15, 16, v1
	s_waitcnt lgkmcnt(0)
	v_lshrrev_b32_e32 v12, 16, v4
	v_fma_f16 v10, v43, v8, -v6
	ds_read2_b32 v[6:7], v78 offset1:160
	v_mul_f16_sdwa v13, v45, v4 dst_sel:DWORD dst_unused:UNUSED_PAD src0_sel:WORD_1 src1_sel:DWORD
	v_mul_f16_sdwa v14, v43, v8 dst_sel:DWORD dst_unused:UNUSED_PAD src0_sel:WORD_1 src1_sel:DWORD
	v_fma_f16 v11, v44, v9, -v11
	v_mul_f16_sdwa v16, v44, v9 dst_sel:DWORD dst_unused:UNUSED_PAD src0_sel:WORD_1 src1_sel:DWORD
	v_mul_f16_sdwa v17, v40, v15 dst_sel:DWORD dst_unused:UNUSED_PAD src0_sel:WORD_1 src1_sel:DWORD
	ds_read2_b32 v[8:9], v81 offset1:160
	v_lshrrev_b32_e32 v18, 16, v5
	v_fma_f16 v13, v45, v12, -v13
	v_mul_f16_sdwa v12, v45, v12 dst_sel:DWORD dst_unused:UNUSED_PAD src0_sel:WORD_1 src1_sel:DWORD
	v_fmac_f16_e32 v14, v43, v0
	v_fmac_f16_e32 v16, v44, v3
	;; [unrolled: 1-line block ×3, first 2 shown]
	v_mul_f16_sdwa v3, v40, v1 dst_sel:DWORD dst_unused:UNUSED_PAD src0_sel:WORD_1 src1_sel:DWORD
	v_mul_f16_sdwa v19, v42, v18 dst_sel:DWORD dst_unused:UNUSED_PAD src0_sel:WORD_1 src1_sel:DWORD
	ds_read2_b32 v[0:1], v71 offset0:64 offset1:224
	v_fmac_f16_e32 v12, v45, v4
	v_mul_f16_sdwa v4, v42, v5 dst_sel:DWORD dst_unused:UNUSED_PAD src0_sel:WORD_1 src1_sel:DWORD
	v_fma_f16 v15, v40, v15, -v3
	v_fmac_f16_e32 v19, v42, v5
	s_waitcnt lgkmcnt(2)
	v_lshrrev_b32_e32 v20, 16, v6
	v_mul_f16_sdwa v21, v41, v6 dst_sel:DWORD dst_unused:UNUSED_PAD src0_sel:WORD_1 src1_sel:DWORD
	v_lshrrev_b32_e32 v5, 16, v7
	v_mul_f16_sdwa v26, v29, v7 dst_sel:DWORD dst_unused:UNUSED_PAD src0_sel:WORD_1 src1_sel:DWORD
	v_fma_f16 v18, v42, v18, -v4
	ds_read2_b32 v[3:4], v76 offset0:64 offset1:224
	v_fma_f16 v21, v41, v20, -v21
	v_mul_f16_sdwa v20, v41, v20 dst_sel:DWORD dst_unused:UNUSED_PAD src0_sel:WORD_1 src1_sel:DWORD
	v_mul_f16_sdwa v25, v29, v5 dst_sel:DWORD dst_unused:UNUSED_PAD src0_sel:WORD_1 src1_sel:DWORD
	s_waitcnt lgkmcnt(2)
	v_lshrrev_b32_e32 v27, 16, v8
	v_mul_f16_sdwa v34, v28, v8 dst_sel:DWORD dst_unused:UNUSED_PAD src0_sel:WORD_1 src1_sel:DWORD
	v_lshrrev_b32_e32 v39, 16, v2
	v_fmac_f16_e32 v20, v41, v6
	v_fmac_f16_e32 v25, v29, v7
	v_fma_f16 v7, v29, v5, -v26
	ds_read2_b32 v[5:6], v88 offset1:160
	v_fma_f16 v26, v28, v27, -v34
	s_waitcnt lgkmcnt(2)
	v_lshrrev_b32_e32 v29, 16, v0
	v_lshrrev_b32_e32 v34, 16, v9
	v_mul_f16_sdwa v35, v30, v0 dst_sel:DWORD dst_unused:UNUSED_PAD src0_sel:WORD_1 src1_sel:DWORD
	v_lshrrev_b32_e32 v36, 16, v1
	v_mul_f16_sdwa v27, v28, v27 dst_sel:DWORD dst_unused:UNUSED_PAD src0_sel:WORD_1 src1_sel:DWORD
	v_mul_f16_sdwa v37, v30, v29 dst_sel:DWORD dst_unused:UNUSED_PAD src0_sel:WORD_1 src1_sel:DWORD
	;; [unrolled: 1-line block ×3, first 2 shown]
	v_fma_f16 v29, v30, v29, -v35
	v_mul_f16_sdwa v35, v33, v36 dst_sel:DWORD dst_unused:UNUSED_PAD src0_sel:WORD_1 src1_sel:DWORD
	v_fmac_f16_e32 v27, v28, v8
	v_fmac_f16_e32 v37, v30, v0
	;; [unrolled: 1-line block ×3, first 2 shown]
	v_mul_f16_sdwa v8, v31, v9 dst_sel:DWORD dst_unused:UNUSED_PAD src0_sel:WORD_1 src1_sel:DWORD
	v_fmac_f16_e32 v35, v33, v1
	v_mul_f16_sdwa v9, v33, v1 dst_sel:DWORD dst_unused:UNUSED_PAD src0_sel:WORD_1 src1_sel:DWORD
	ds_read2_b32 v[0:1], v84 offset1:160
	v_mul_f16_sdwa v40, v23, v2 dst_sel:DWORD dst_unused:UNUSED_PAD src0_sel:WORD_1 src1_sel:DWORD
	v_fma_f16 v8, v31, v34, -v8
	s_waitcnt lgkmcnt(2)
	v_lshrrev_b32_e32 v31, 16, v4
	v_fma_f16 v9, v33, v36, -v9
	v_mul_f16_sdwa v33, v23, v39 dst_sel:DWORD dst_unused:UNUSED_PAD src0_sel:WORD_1 src1_sel:DWORD
	s_waitcnt lgkmcnt(1)
	v_lshrrev_b32_e32 v34, 16, v6
	v_mul_f16_sdwa v41, v24, v4 dst_sel:DWORD dst_unused:UNUSED_PAD src0_sel:WORD_1 src1_sel:DWORD
	v_mul_f16_sdwa v36, v24, v31 dst_sel:DWORD dst_unused:UNUSED_PAD src0_sel:WORD_1 src1_sel:DWORD
	v_sub_f16_e32 v12, v14, v12
	v_fmac_f16_e32 v33, v23, v2
	v_mul_f16_sdwa v2, v22, v34 dst_sel:DWORD dst_unused:UNUSED_PAD src0_sel:WORD_1 src1_sel:DWORD
	v_sub_f16_e32 v13, v10, v13
	v_fmac_f16_e32 v36, v24, v4
	v_fma_f16 v4, v23, v39, -v40
	v_mul_f16_sdwa v23, v22, v6 dst_sel:DWORD dst_unused:UNUSED_PAD src0_sel:WORD_1 src1_sel:DWORD
	v_fmac_f16_e32 v2, v22, v6
	v_fma_f16 v6, v24, v31, -v41
	v_lshrrev_b32_e32 v28, 16, v3
	v_mul_f16_sdwa v30, v32, v3 dst_sel:DWORD dst_unused:UNUSED_PAD src0_sel:WORD_1 src1_sel:DWORD
	s_waitcnt lgkmcnt(0)
	v_sub_f16_e32 v24, v0, v33
	v_lshrrev_b32_e32 v31, 16, v0
	v_fma_f16 v22, v22, v34, -v23
	v_sub_f16_e32 v23, v2, v36
	v_sub_f16_e32 v16, v1, v16
	v_fma_f16 v0, v0, 2.0, -v24
	v_sub_f16_e32 v4, v31, v4
	v_sub_f16_e32 v6, v22, v6
	v_fma_f16 v2, v2, 2.0, -v23
	v_lshrrev_b32_e32 v33, 16, v1
	v_fma_f16 v34, v1, 2.0, -v16
	v_fma_f16 v31, v31, 2.0, -v4
	v_fma_f16 v1, v22, 2.0, -v6
	v_sub_f16_e32 v2, v0, v2
	v_add_f16_e32 v6, v24, v6
	v_sub_f16_e32 v23, v4, v23
	v_sub_f16_e32 v11, v33, v11
	;; [unrolled: 1-line block ×3, first 2 shown]
	v_fma_f16 v36, v0, 2.0, -v2
	ds_read2_b32 v[0:1], v89 offset0:64 offset1:224
	v_fma_f16 v24, v24, 2.0, -v6
	v_fma_f16 v4, v4, 2.0, -v23
	;; [unrolled: 1-line block ×6, first 2 shown]
	v_pack_b32_f16 v4, v24, v4
	v_pack_b32_f16 v2, v2, v22
	v_add_f16_e32 v13, v16, v13
	v_fma_f16 v30, v32, v28, -v30
	v_mul_f16_sdwa v28, v32, v28 dst_sel:DWORD dst_unused:UNUSED_PAD src0_sel:WORD_1 src1_sel:DWORD
	v_sub_f16_e32 v14, v34, v14
	v_sub_f16_e32 v10, v33, v10
	s_waitcnt lgkmcnt(0)
	s_barrier
	buffer_gl0_inv
	ds_write_b32 v84, v4 offset:1600
	ds_write_b32 v84, v2 offset:3200
	v_sub_f16_e32 v2, v11, v12
	v_fma_f16 v4, v16, 2.0, -v13
	v_lshrrev_b32_e32 v22, 16, v0
	v_sub_f16_e32 v16, v17, v19
	v_sub_f16_e32 v19, v0, v20
	;; [unrolled: 1-line block ×3, first 2 shown]
	v_fmac_f16_e32 v28, v32, v3
	v_sub_f16_e32 v12, v22, v21
	v_fma_f16 v3, v34, 2.0, -v14
	v_fma_f16 v32, v33, 2.0, -v10
	v_pack_b32_f16 v6, v6, v23
	v_fma_f16 v11, v11, 2.0, -v2
	v_fma_f16 v20, v22, 2.0, -v12
	;; [unrolled: 1-line block ×5, first 2 shown]
	v_pack_b32_f16 v31, v36, v31
	v_pack_b32_f16 v3, v3, v32
	ds_write_b32 v84, v6 offset:4800
	ds_write2_b32 v84, v31, v3 offset1:160
	v_pack_b32_f16 v3, v4, v11
	v_sub_f16_e32 v4, v0, v17
	v_sub_f16_e32 v6, v20, v15
	v_add_f16_e32 v11, v19, v18
	v_sub_f16_e32 v15, v12, v16
	v_pack_b32_f16 v10, v14, v10
	v_fma_f16 v0, v0, 2.0, -v4
	v_fma_f16 v14, v20, 2.0, -v6
	;; [unrolled: 1-line block ×4, first 2 shown]
	ds_write_b32 v84, v3 offset:2240
	ds_write_b32 v84, v10 offset:3840
	v_pack_b32_f16 v2, v13, v2
	v_pack_b32_f16 v0, v0, v14
	;; [unrolled: 1-line block ×4, first 2 shown]
	v_sub_f16_e32 v10, v1, v25
	v_lshrrev_b32_e32 v11, 16, v1
	v_pack_b32_f16 v3, v16, v12
	ds_write_b32 v84, v2 offset:5440
	v_sub_f16_e32 v2, v27, v37
	ds_write_b32 v108, v0
	v_fma_f16 v0, v1, 2.0, -v10
	v_sub_f16_e32 v1, v11, v7
	v_sub_f16_e32 v7, v26, v29
	v_fma_f16 v12, v27, 2.0, -v2
	ds_write_b32 v108, v3 offset:1600
	v_sub_f16_e32 v3, v5, v28
	v_fma_f16 v11, v11, 2.0, -v1
	v_fma_f16 v13, v26, 2.0, -v7
	v_lshrrev_b32_e32 v14, 16, v5
	v_sub_f16_e32 v12, v0, v12
	ds_write_b32 v108, v4 offset:3200
	v_fma_f16 v4, v5, 2.0, -v3
	v_sub_f16_e32 v5, v11, v13
	v_sub_f16_e32 v13, v14, v30
	;; [unrolled: 1-line block ×4, first 2 shown]
	v_fma_f16 v0, v0, 2.0, -v12
	v_fma_f16 v11, v11, 2.0, -v5
	;; [unrolled: 1-line block ×5, first 2 shown]
	v_add_f16_e32 v7, v10, v7
	v_pack_b32_f16 v0, v0, v11
	v_sub_f16_e32 v2, v1, v2
	v_sub_f16_e32 v11, v4, v16
	;; [unrolled: 1-line block ×3, first 2 shown]
	v_add_f16_e32 v9, v3, v9
	v_sub_f16_e32 v15, v13, v15
	v_fma_f16 v10, v10, 2.0, -v7
	v_fma_f16 v4, v4, 2.0, -v11
	;; [unrolled: 1-line block ×6, first 2 shown]
	v_pack_b32_f16 v5, v12, v5
	v_pack_b32_f16 v4, v4, v14
	;; [unrolled: 1-line block ×7, first 2 shown]
	ds_write_b32 v108, v6 offset:4800
	ds_write2_b32 v102, v0, v4 offset0:16 offset1:176
	ds_write2_b32 v94, v1, v3 offset0:32 offset1:192
	;; [unrolled: 1-line block ×4, first 2 shown]
	s_waitcnt lgkmcnt(0)
	s_barrier
	buffer_gl0_inv
	ds_read2_b32 v[0:1], v83 offset0:64 offset1:224
	ds_read2_b32 v[2:3], v84 offset1:160
	ds_read2_b32 v[4:5], v78 offset1:160
	s_waitcnt lgkmcnt(2)
	v_lshrrev_b32_e32 v6, 16, v0
	v_lshrrev_b32_e32 v7, 16, v1
	v_mul_f16_sdwa v9, v117, v0 dst_sel:DWORD dst_unused:UNUSED_PAD src0_sel:WORD_1 src1_sel:DWORD
	v_mul_f16_sdwa v12, v116, v1 dst_sel:DWORD dst_unused:UNUSED_PAD src0_sel:WORD_1 src1_sel:DWORD
	s_waitcnt lgkmcnt(1)
	v_lshrrev_b32_e32 v10, 16, v2
	v_mul_f16_sdwa v8, v117, v6 dst_sel:DWORD dst_unused:UNUSED_PAD src0_sel:WORD_1 src1_sel:DWORD
	v_mul_f16_sdwa v11, v116, v7 dst_sel:DWORD dst_unused:UNUSED_PAD src0_sel:WORD_1 src1_sel:DWORD
	v_fma_f16 v6, v117, v6, -v9
	v_lshrrev_b32_e32 v9, 16, v3
	v_fma_f16 v7, v116, v7, -v12
	v_fmac_f16_e32 v8, v117, v0
	v_fmac_f16_e32 v11, v116, v1
	ds_read2_b32 v[0:1], v89 offset0:64 offset1:224
	v_sub_f16_e32 v6, v10, v6
	s_waitcnt lgkmcnt(1)
	v_lshrrev_b32_e32 v13, 16, v4
	v_sub_f16_e32 v8, v2, v8
	v_sub_f16_e32 v16, v3, v11
	;; [unrolled: 1-line block ×3, first 2 shown]
	v_fma_f16 v10, v10, 2.0, -v6
	v_mul_f16_sdwa v14, v115, v4 dst_sel:DWORD dst_unused:UNUSED_PAD src0_sel:WORD_1 src1_sel:DWORD
	v_fma_f16 v11, v2, 2.0, -v8
	v_pack_b32_f16 v8, v8, v6
	v_fma_f16 v12, v3, 2.0, -v16
	ds_read2_b32 v[2:3], v88 offset1:160
	ds_read2_b32 v[6:7], v76 offset0:64 offset1:224
	v_mul_f16_sdwa v15, v115, v13 dst_sel:DWORD dst_unused:UNUSED_PAD src0_sel:WORD_1 src1_sel:DWORD
	v_fma_f16 v9, v9, 2.0, -v17
	ds_write_b32 v84, v8 offset:6400
	v_fma_f16 v14, v115, v13, -v14
	v_pack_b32_f16 v18, v11, v10
	v_fmac_f16_e32 v15, v115, v4
	v_pack_b32_f16 v19, v12, v9
	ds_read2_b32 v[8:9], v87 offset0:64 offset1:224
	ds_read2_b32 v[10:11], v73 offset1:160
	ds_read2_b32 v[12:13], v81 offset1:160
	s_waitcnt lgkmcnt(6)
	v_lshrrev_b32_e32 v4, 16, v0
	v_lshrrev_b32_e32 v22, 16, v5
	v_sub_f16_e32 v20, v0, v15
	v_pack_b32_f16 v16, v16, v17
	v_sub_f16_e32 v21, v4, v14
	ds_read2_b32 v[14:15], v71 offset0:64 offset1:224
	ds_write2_b32 v84, v18, v19 offset1:160
	v_mul_f16_sdwa v18, v111, v22 dst_sel:DWORD dst_unused:UNUSED_PAD src0_sel:WORD_1 src1_sel:DWORD
	v_mul_f16_sdwa v19, v111, v5 dst_sel:DWORD dst_unused:UNUSED_PAD src0_sel:WORD_1 src1_sel:DWORD
	v_pack_b32_f16 v17, v20, v21
	s_waitcnt lgkmcnt(6)
	v_lshrrev_b32_e32 v23, 16, v6
	v_mul_f16_sdwa v24, v114, v6 dst_sel:DWORD dst_unused:UNUSED_PAD src0_sel:WORD_1 src1_sel:DWORD
	v_fmac_f16_e32 v18, v111, v5
	v_fma_f16 v5, v111, v22, -v19
	ds_write2_b32 v122, v16, v17 offset0:32 offset1:192
	v_lshrrev_b32_e32 v16, 16, v7
	v_fma_f16 v17, v114, v23, -v24
	v_mul_f16_sdwa v19, v114, v23 dst_sel:DWORD dst_unused:UNUSED_PAD src0_sel:WORD_1 src1_sel:DWORD
	v_mul_f16_sdwa v23, v113, v7 dst_sel:DWORD dst_unused:UNUSED_PAD src0_sel:WORD_1 src1_sel:DWORD
	s_waitcnt lgkmcnt(4)
	v_lshrrev_b32_e32 v24, 16, v10
	v_mul_f16_sdwa v22, v113, v16 dst_sel:DWORD dst_unused:UNUSED_PAD src0_sel:WORD_1 src1_sel:DWORD
	v_mul_f16_sdwa v25, v112, v10 dst_sel:DWORD dst_unused:UNUSED_PAD src0_sel:WORD_1 src1_sel:DWORD
	v_sub_f16_e32 v18, v1, v18
	v_fma_f16 v4, v4, 2.0, -v21
	v_fma_f16 v0, v0, 2.0, -v20
	v_fmac_f16_e32 v22, v113, v7
	v_fma_f16 v7, v113, v16, -v23
	v_mul_f16_sdwa v23, v112, v24 dst_sel:DWORD dst_unused:UNUSED_PAD src0_sel:WORD_1 src1_sel:DWORD
	v_fmac_f16_e32 v19, v114, v6
	v_lshrrev_b32_e32 v6, 16, v11
	v_pack_b32_f16 v0, v0, v4
	v_fma_f16 v16, v112, v24, -v25
	v_fmac_f16_e32 v23, v112, v10
	v_lshrrev_b32_e32 v10, 16, v1
	v_fma_f16 v1, v1, 2.0, -v18
	v_mul_f16_sdwa v24, v110, v6 dst_sel:DWORD dst_unused:UNUSED_PAD src0_sel:WORD_1 src1_sel:DWORD
	v_mul_f16_sdwa v25, v110, v11 dst_sel:DWORD dst_unused:UNUSED_PAD src0_sel:WORD_1 src1_sel:DWORD
	s_waitcnt lgkmcnt(2)
	v_lshrrev_b32_e32 v26, 16, v14
	v_sub_f16_e32 v5, v10, v5
	v_mul_f16_sdwa v27, v120, v14 dst_sel:DWORD dst_unused:UNUSED_PAD src0_sel:WORD_1 src1_sel:DWORD
	v_fmac_f16_e32 v24, v110, v11
	v_fma_f16 v6, v110, v6, -v25
	v_mul_f16_sdwa v25, v120, v26 dst_sel:DWORD dst_unused:UNUSED_PAD src0_sel:WORD_1 src1_sel:DWORD
	v_fma_f16 v10, v10, 2.0, -v5
	v_fma_f16 v11, v120, v26, -v27
	v_lshrrev_b32_e32 v26, 16, v15
	v_mul_f16_sdwa v21, v119, v15 dst_sel:DWORD dst_unused:UNUSED_PAD src0_sel:WORD_1 src1_sel:DWORD
	v_fmac_f16_e32 v25, v120, v14
	v_pack_b32_f16 v1, v1, v10
	v_sub_f16_e32 v10, v2, v19
	v_mul_f16_sdwa v20, v119, v26 dst_sel:DWORD dst_unused:UNUSED_PAD src0_sel:WORD_1 src1_sel:DWORD
	v_fma_f16 v4, v119, v26, -v21
	v_sub_f16_e32 v14, v3, v22
	ds_write2_b32 v89, v0, v1 offset0:64 offset1:224
	v_lshrrev_b32_e32 v0, 16, v2
	v_lshrrev_b32_e32 v1, 16, v3
	v_fma_f16 v2, v2, 2.0, -v10
	v_lshrrev_b32_e32 v21, 16, v8
	v_lshrrev_b32_e32 v22, 16, v9
	v_sub_f16_e32 v17, v0, v17
	v_sub_f16_e32 v7, v1, v7
	v_fmac_f16_e32 v20, v119, v15
	v_sub_f16_e32 v15, v8, v23
	v_sub_f16_e32 v19, v9, v24
	v_fma_f16 v0, v0, 2.0, -v17
	v_sub_f16_e32 v23, v12, v25
	v_lshrrev_b32_e32 v24, 16, v12
	v_lshrrev_b32_e32 v25, 16, v13
	v_fma_f16 v3, v3, 2.0, -v14
	v_pack_b32_f16 v0, v2, v0
	v_pack_b32_f16 v2, v10, v17
	v_fma_f16 v1, v1, 2.0, -v7
	v_sub_f16_e32 v10, v21, v16
	v_sub_f16_e32 v6, v22, v6
	v_sub_f16_e32 v20, v13, v20
	v_sub_f16_e32 v11, v24, v11
	v_sub_f16_e32 v4, v25, v4
	v_pack_b32_f16 v5, v18, v5
	v_fma_f16 v8, v8, 2.0, -v15
	v_fma_f16 v9, v9, 2.0, -v19
	v_pack_b32_f16 v1, v3, v1
	v_fma_f16 v3, v21, 2.0, -v10
	v_fma_f16 v16, v22, 2.0, -v6
	;; [unrolled: 1-line block ×6, first 2 shown]
	ds_write2_b32 v94, v5, v2 offset0:32 offset1:192
	ds_write2_b32 v88, v0, v1 offset1:160
	v_pack_b32_f16 v0, v14, v7
	v_pack_b32_f16 v2, v15, v10
	;; [unrolled: 1-line block ×9, first 2 shown]
	ds_write2_b32 v118, v0, v2 offset0:32 offset1:192
	ds_write2_b32 v87, v1, v3 offset0:64 offset1:224
	;; [unrolled: 1-line block ×3, first 2 shown]
	ds_write2_b32 v81, v6, v8 offset1:160
	ds_write_b32 v84, v4 offset:12160
	s_waitcnt lgkmcnt(0)
	s_barrier
	buffer_gl0_inv
	ds_read2_b32 v[14:15], v84 offset1:160
	s_waitcnt lgkmcnt(0)
	v_lshrrev_b32_e32 v2, 16, v14
	v_mul_f16_sdwa v3, v86, v14 dst_sel:DWORD dst_unused:UNUSED_PAD src0_sel:WORD_1 src1_sel:DWORD
	v_mul_f16_sdwa v0, v86, v2 dst_sel:DWORD dst_unused:UNUSED_PAD src0_sel:WORD_1 src1_sel:DWORD
	v_fma_f16 v2, v86, v2, -v3
	v_fmac_f16_e32 v0, v86, v14
	v_cvt_f32_f16_e32 v2, v2
	v_cvt_f32_f16_e32 v0, v0
	v_cvt_f64_f32_e32 v[3:4], v2
	v_cvt_f64_f32_e32 v[0:1], v0
	v_mul_f64 v[3:4], v[3:4], s[2:3]
	v_mul_f64 v[7:8], v[0:1], s[2:3]
	ds_read2_b32 v[1:2], v89 offset0:64 offset1:224
	v_and_or_b32 v3, 0x1ff, v4, v3
	v_lshrrev_b32_e32 v13, 8, v4
	v_bfe_u32 v14, v4, 20, 11
	s_waitcnt lgkmcnt(0)
	v_lshrrev_b32_e32 v9, 16, v1
	v_and_or_b32 v0, 0x1ff, v8, v7
	v_lshrrev_b32_e32 v5, 8, v8
	v_bfe_u32 v7, v8, 20, 11
	v_lshrrev_b32_e32 v22, 16, v4
	v_lshrrev_b32_e32 v8, 16, v8
	v_cmp_ne_u32_e32 vcc_lo, 0, v0
	v_cndmask_b32_e64 v0, 0, 1, vcc_lo
	v_cmp_ne_u32_e32 vcc_lo, 0, v3
	v_and_or_b32 v11, 0xffe, v5, v0
	v_mul_f16_sdwa v5, v85, v9 dst_sel:DWORD dst_unused:UNUSED_PAD src0_sel:WORD_1 src1_sel:DWORD
	v_sub_nc_u32_e32 v0, 0x3f1, v7
	v_cndmask_b32_e64 v3, 0, 1, vcc_lo
	v_add_nc_u32_e32 v7, 0xfffffc10, v7
	v_or_b32_e32 v10, 0x1000, v11
	v_fmac_f16_e32 v5, v85, v1
	v_med3_i32 v0, v0, 0, 13
	v_and_or_b32 v13, 0xffe, v13, v3
	v_sub_nc_u32_e32 v3, 0x3f1, v14
	v_mul_f16_sdwa v1, v85, v1 dst_sel:DWORD dst_unused:UNUSED_PAD src0_sel:WORD_1 src1_sel:DWORD
	v_cvt_f32_f16_e32 v5, v5
	v_lshrrev_b32_e32 v12, v0, v10
	v_add_nc_u32_e32 v14, 0xfffffc10, v14
	v_med3_i32 v3, v3, 0, 13
	v_fma_f16 v9, v85, v9, -v1
	v_cvt_f64_f32_e32 v[5:6], v5
	v_lshlrev_b32_e32 v0, v0, v12
	v_cmp_gt_i32_e64 s1, 1, v14
	v_cmp_ne_u32_e32 vcc_lo, v0, v10
	v_or_b32_e32 v10, 0x1000, v13
	v_cndmask_b32_e64 v0, 0, 1, vcc_lo
	v_lshrrev_b32_e32 v16, v3, v10
	v_cmp_gt_i32_e32 vcc_lo, 1, v7
	v_or_b32_e32 v0, v12, v0
	v_lshl_or_b32 v12, v7, 12, v11
	v_lshlrev_b32_e32 v3, v3, v16
	v_cndmask_b32_e32 v12, v12, v0, vcc_lo
	v_mul_f64 v[0:1], v[5:6], s[2:3]
	v_cvt_f32_f16_e32 v5, v9
	v_cmp_ne_u32_e32 vcc_lo, v3, v10
	v_mad_u64_u32 v[9:10], null, s10, v46, 0
	v_and_b32_e32 v17, 7, v12
	v_cvt_f64_f32_e32 v[5:6], v5
	v_cndmask_b32_e64 v3, 0, 1, vcc_lo
	v_lshrrev_b32_e32 v12, 2, v12
	v_cmp_lt_i32_e32 vcc_lo, 5, v17
	v_cmp_eq_u32_e64 s0, 3, v17
	v_or_b32_e32 v3, v16, v3
	v_lshl_or_b32 v16, v14, 12, v13
	s_or_b32 vcc_lo, s0, vcc_lo
	v_add_co_ci_u32_e32 v12, vcc_lo, 0, v12, vcc_lo
	v_cmp_ne_u32_e32 vcc_lo, 0, v11
	v_cndmask_b32_e64 v16, v16, v3, s1
	v_and_or_b32 v0, 0x1ff, v1, v0
	v_mov_b32_e32 v3, v10
	v_cndmask_b32_e64 v11, 0, 1, vcc_lo
	v_and_b32_e32 v17, 7, v16
	v_cmp_gt_i32_e32 vcc_lo, 31, v7
	v_cmp_ne_u32_e64 s1, 0, v0
	v_mad_u64_u32 v[3:4], null, s11, v46, v[3:4]
	v_lshl_or_b32 v18, v11, 9, 0x7c00
	v_mul_f64 v[10:11], v[5:6], s[2:3]
	v_cndmask_b32_e32 v12, 0x7c00, v12, vcc_lo
	v_cmp_lt_i32_e32 vcc_lo, 5, v17
	v_cmp_eq_u32_e64 s0, 3, v17
	v_lshrrev_b32_e32 v5, 2, v16
	v_cndmask_b32_e64 v0, 0, 1, s1
	v_cmp_eq_u32_e64 s1, 0x40f, v7
	ds_read2_b32 v[6:7], v88 offset1:160
	s_or_b32 vcc_lo, s0, vcc_lo
	v_lshrrev_b32_e32 v16, 8, v1
	v_add_co_ci_u32_e32 v5, vcc_lo, 0, v5, vcc_lo
	v_bfe_u32 v17, v1, 20, 11
	v_cmp_ne_u32_e32 vcc_lo, 0, v13
	v_cndmask_b32_e64 v18, v12, v18, s1
	v_and_or_b32 v16, 0xffe, v16, v0
	v_sub_nc_u32_e32 v0, 0x3f1, v17
	v_cndmask_b32_e64 v12, 0, 1, vcc_lo
	v_cmp_gt_i32_e32 vcc_lo, 31, v14
	v_or_b32_e32 v19, 0x1000, v16
	v_add_nc_u32_e32 v26, 0xfffffc10, v17
	v_med3_i32 v0, v0, 0, 13
	v_lshl_or_b32 v20, v12, 9, 0x7c00
	v_cndmask_b32_e32 v5, 0x7c00, v5, vcc_lo
	v_and_or_b32 v10, 0x1ff, v11, v10
	v_cmp_eq_u32_e32 vcc_lo, 0x40f, v14
	v_lshrrev_b32_e32 v21, v0, v19
	s_waitcnt lgkmcnt(0)
	v_lshrrev_b32_e32 v23, 16, v6
	v_bfe_u32 v24, v11, 20, 11
	v_mad_u64_u32 v[12:13], null, s8, v80, 0
	v_cndmask_b32_e32 v20, v5, v20, vcc_lo
	v_cmp_ne_u32_e32 vcc_lo, 0, v10
	v_lshlrev_b32_e32 v0, v0, v21
	v_lshrrev_b32_e32 v10, 8, v11
	v_mul_f16_sdwa v14, v82, v23 dst_sel:DWORD dst_unused:UNUSED_PAD src0_sel:WORD_1 src1_sel:DWORD
	v_sub_nc_u32_e32 v4, 0x3f1, v24
	v_cndmask_b32_e64 v5, 0, 1, vcc_lo
	v_cmp_ne_u32_e32 vcc_lo, v0, v19
	v_lshl_or_b32 v19, v26, 12, v16
	v_fmac_f16_e32 v14, v82, v6
	v_mul_f16_sdwa v6, v82, v6 dst_sel:DWORD dst_unused:UNUSED_PAD src0_sel:WORD_1 src1_sel:DWORD
	v_and_or_b32 v25, 0xffe, v10, v5
	v_cndmask_b32_e64 v0, 0, 1, vcc_lo
	v_med3_i32 v10, v4, 0, 13
	v_cvt_f32_f16_e32 v4, v14
	v_cmp_gt_i32_e32 vcc_lo, 1, v26
	v_or_b32_e32 v17, 0x1000, v25
	v_or_b32_e32 v14, v21, v0
	v_mov_b32_e32 v0, v13
	v_cvt_f64_f32_e32 v[4:5], v4
	v_lshrrev_b32_e32 v21, v10, v17
	v_cndmask_b32_e32 v19, v19, v14, vcc_lo
	v_mad_u64_u32 v[13:14], null, s9, v80, v[0:1]
	v_and_or_b32 v0, 0x8000, v8, v18
	v_lshlrev_b32_e32 v8, v10, v21
	v_and_b32_e32 v18, 7, v19
	v_mov_b32_e32 v10, v3
	v_fma_f16 v3, v82, v23, -v6
	v_and_or_b32 v14, 0x8000, v22, v20
	v_cmp_ne_u32_e64 s0, v8, v17
	v_cmp_lt_i32_e32 vcc_lo, 5, v18
	v_lshrrev_b32_e32 v8, 2, v19
	v_cvt_f32_f16_e32 v3, v3
	v_add_nc_u32_e32 v20, 0xfffffc10, v24
	v_cndmask_b32_e64 v6, 0, 1, s0
	v_cmp_eq_u32_e64 s0, 3, v18
	v_and_b32_e32 v0, 0xffff, v0
	v_cvt_f64_f32_e32 v[18:19], v3
	v_lshrrev_b32_e32 v23, 16, v1
	v_or_b32_e32 v17, v21, v6
	s_or_b32 vcc_lo, s0, vcc_lo
	v_mul_f64 v[5:6], v[4:5], s[2:3]
	v_add_co_ci_u32_e32 v3, vcc_lo, 0, v8, vcc_lo
	v_cmp_ne_u32_e32 vcc_lo, 0, v16
	v_lshl_or_b32 v21, v20, 12, v25
	v_lshlrev_b64 v[8:9], 2, v[9:10]
	v_lshl_or_b32 v14, v14, 16, v0
	v_cndmask_b32_e64 v4, 0, 1, vcc_lo
	v_cmp_gt_i32_e32 vcc_lo, 1, v20
	v_lshl_or_b32 v10, v4, 9, 0x7c00
	v_cndmask_b32_e32 v21, v21, v17, vcc_lo
	v_cmp_gt_i32_e32 vcc_lo, 31, v26
	v_and_b32_e32 v22, 7, v21
	v_cndmask_b32_e32 v0, 0x7c00, v3, vcc_lo
	v_add_co_u32 v16, vcc_lo, s4, v8
	ds_read2_b32 v[3:4], v87 offset0:64 offset1:224
	v_add_co_ci_u32_e32 v17, vcc_lo, s5, v9, vcc_lo
	v_cmp_eq_u32_e32 vcc_lo, 0x40f, v26
	v_mul_f64 v[8:9], v[18:19], s[2:3]
	v_and_or_b32 v5, 0x1ff, v6, v5
	v_cmp_eq_u32_e64 s0, 3, v22
	v_bfe_u32 v19, v6, 20, 11
	v_cndmask_b32_e32 v10, v0, v10, vcc_lo
	v_cmp_lt_i32_e32 vcc_lo, 5, v22
	v_lshlrev_b64 v[0:1], 2, v[12:13]
	v_lshrrev_b32_e32 v12, 2, v21
	v_cmp_ne_u32_e64 s1, 0, v5
	v_and_or_b32 v18, 0x8000, v23, v10
	s_or_b32 vcc_lo, s0, vcc_lo
	v_lshrrev_b32_e32 v10, 8, v6
	v_add_co_ci_u32_e32 v12, vcc_lo, 0, v12, vcc_lo
	v_cndmask_b32_e64 v5, 0, 1, s1
	v_cmp_ne_u32_e32 vcc_lo, 0, v25
	s_waitcnt lgkmcnt(0)
	v_lshrrev_b32_e32 v21, 16, v3
	v_lshrrev_b32_e32 v25, 16, v11
	s_mul_i32 s0, s9, 0x500
	v_and_or_b32 v5, 0xffe, v10, v5
	v_sub_nc_u32_e32 v10, 0x3f1, v19
	v_cndmask_b32_e64 v13, 0, 1, vcc_lo
	v_cmp_gt_i32_e32 vcc_lo, 31, v20
	v_mul_f16_sdwa v22, v79, v21 dst_sel:DWORD dst_unused:UNUSED_PAD src0_sel:WORD_1 src1_sel:DWORD
	v_or_b32_e32 v23, 0x1000, v5
	v_med3_i32 v10, v10, 0, 13
	v_lshl_or_b32 v13, v13, 9, 0x7c00
	v_cndmask_b32_e32 v12, 0x7c00, v12, vcc_lo
	v_and_or_b32 v8, 0x1ff, v9, v8
	v_cmp_eq_u32_e32 vcc_lo, 0x40f, v20
	v_fmac_f16_e32 v22, v79, v3
	v_lshrrev_b32_e32 v24, v10, v23
	v_lshrrev_b32_e32 v26, 8, v9
	v_bfe_u32 v27, v9, 20, 11
	v_cndmask_b32_e32 v20, v12, v13, vcc_lo
	v_cmp_ne_u32_e32 vcc_lo, 0, v8
	v_cvt_f32_f16_e32 v11, v22
	v_lshlrev_b32_e32 v22, v10, v24
	v_mul_f16_sdwa v3, v79, v3 dst_sel:DWORD dst_unused:UNUSED_PAD src0_sel:WORD_1 src1_sel:DWORD
	s_mul_hi_u32 s4, s8, 0x500
	v_cndmask_b32_e64 v8, 0, 1, vcc_lo
	v_add_co_u32 v12, vcc_lo, v16, v0
	v_add_co_ci_u32_e32 v13, vcc_lo, v17, v1, vcc_lo
	v_and_or_b32 v8, 0xffe, v26, v8
	v_sub_nc_u32_e32 v0, 0x3f1, v27
	v_cmp_ne_u32_e32 vcc_lo, v22, v23
	v_cvt_f64_f32_e32 v[10:11], v11
	v_add_nc_u32_e32 v22, 0xfffffc10, v19
	v_or_b32_e32 v23, 0x1000, v8
	v_med3_i32 v0, v0, 0, 13
	v_cndmask_b32_e64 v1, 0, 1, vcc_lo
	v_fma_f16 v3, v79, v21, -v3
	v_lshl_or_b32 v19, v22, 12, v5
	v_cmp_gt_i32_e32 vcc_lo, 1, v22
	v_lshrrev_b32_e32 v21, v0, v23
	v_or_b32_e32 v1, v24, v1
	v_cvt_f32_f16_e32 v3, v3
	v_and_b32_e32 v24, 0xffff, v18
	s_add_i32 s4, s4, s0
	v_lshlrev_b32_e32 v0, v0, v21
	v_cndmask_b32_e32 v1, v19, v1, vcc_lo
	v_cvt_f64_f32_e32 v[18:19], v3
	v_and_or_b32 v20, 0x8000, v25, v20
	global_store_dword v[12:13], v14, off
	v_cmp_ne_u32_e32 vcc_lo, v0, v23
	v_and_b32_e32 v3, 7, v1
	s_mul_i32 s5, s8, 0x500
	v_lshl_or_b32 v14, v20, 16, v24
	v_mul_f64 v[10:11], v[10:11], s[2:3]
	v_cndmask_b32_e64 v0, 0, 1, vcc_lo
	v_cmp_lt_i32_e32 vcc_lo, 5, v3
	v_cmp_eq_u32_e64 s0, 3, v3
	v_lshrrev_b32_e32 v3, 2, v1
	v_add_nc_u32_e32 v24, 0xfffffc10, v27
	v_or_b32_e32 v20, v21, v0
	ds_read2_b32 v[0:1], v81 offset1:160
	s_or_b32 vcc_lo, s0, vcc_lo
	v_lshrrev_b32_e32 v9, 16, v9
	v_add_co_ci_u32_e32 v3, vcc_lo, 0, v3, vcc_lo
	v_cmp_ne_u32_e32 vcc_lo, 0, v5
	v_lshl_or_b32 v21, v24, 12, v8
	v_mul_f64 v[18:19], v[18:19], s[2:3]
	v_cndmask_b32_e64 v5, 0, 1, vcc_lo
	v_add_co_u32 v12, vcc_lo, v12, s5
	v_add_co_ci_u32_e32 v13, vcc_lo, s4, v13, vcc_lo
	v_cmp_gt_i32_e32 vcc_lo, 1, v24
	v_and_or_b32 v10, 0x1ff, v11, v10
	v_bfe_u32 v23, v11, 20, 11
	v_lshl_or_b32 v5, v5, 9, 0x7c00
	global_store_dword v[12:13], v14, off
	v_cndmask_b32_e32 v20, v21, v20, vcc_lo
	v_cmp_gt_i32_e32 vcc_lo, 31, v22
	v_lshrrev_b32_e32 v21, 8, v11
	s_waitcnt lgkmcnt(0)
	v_lshrrev_b32_e32 v25, 16, v0
	v_lshrrev_b32_e32 v11, 16, v11
	v_and_b32_e32 v14, 7, v20
	v_cndmask_b32_e32 v3, 0x7c00, v3, vcc_lo
	v_cmp_ne_u32_e32 vcc_lo, 0, v10
	v_mul_f16_sdwa v26, v77, v25 dst_sel:DWORD dst_unused:UNUSED_PAD src0_sel:WORD_1 src1_sel:DWORD
	v_and_or_b32 v18, 0x1ff, v19, v18
	v_cmp_eq_u32_e64 s0, 3, v14
	v_cndmask_b32_e64 v10, 0, 1, vcc_lo
	v_cmp_eq_u32_e32 vcc_lo, 0x40f, v22
	v_fmac_f16_e32 v26, v77, v0
	v_cmp_ne_u32_e64 s1, 0, v18
	v_bfe_u32 v27, v19, 20, 11
	v_and_or_b32 v10, 0xffe, v21, v10
	v_sub_nc_u32_e32 v21, 0x3f1, v23
	v_cndmask_b32_e32 v3, v3, v5, vcc_lo
	v_cmp_lt_i32_e32 vcc_lo, 5, v14
	v_lshrrev_b32_e32 v14, 2, v20
	v_or_b32_e32 v5, 0x1000, v10
	v_med3_i32 v21, v21, 0, 13
	v_cvt_f32_f16_e32 v20, v26
	s_or_b32 vcc_lo, s0, vcc_lo
	v_cndmask_b32_e64 v18, 0, 1, s1
	v_add_co_ci_u32_e32 v14, vcc_lo, 0, v14, vcc_lo
	v_lshrrev_b32_e32 v22, v21, v5
	v_lshrrev_b32_e32 v26, 8, v19
	v_mul_f16_sdwa v0, v77, v0 dst_sel:DWORD dst_unused:UNUSED_PAD src0_sel:WORD_1 src1_sel:DWORD
	v_lshrrev_b32_e32 v19, 16, v19
	v_lshlrev_b32_e32 v28, v21, v22
	v_cvt_f64_f32_e32 v[20:21], v20
	v_and_or_b32 v18, 0xffe, v26, v18
	v_sub_nc_u32_e32 v26, 0x3f1, v27
	v_fma_f16 v0, v77, v25, -v0
	v_cmp_ne_u32_e32 vcc_lo, v28, v5
	v_add_nc_u32_e32 v28, 0xfffffc10, v23
	v_or_b32_e32 v29, 0x1000, v18
	v_med3_i32 v23, v26, 0, 13
	v_cvt_f32_f16_e32 v0, v0
	v_cndmask_b32_e64 v5, 0, 1, vcc_lo
	v_cmp_ne_u32_e32 vcc_lo, 0, v8
	v_cmp_eq_u32_e64 s1, 0x40f, v28
	v_lshrrev_b32_e32 v25, v23, v29
	v_or_b32_e32 v5, v22, v5
	v_cndmask_b32_e64 v8, 0, 1, vcc_lo
	v_cmp_gt_i32_e32 vcc_lo, 31, v24
	v_lshl_or_b32 v22, v28, 12, v10
	v_lshlrev_b32_e32 v26, v23, v25
	v_lshl_or_b32 v8, v8, 9, 0x7c00
	v_cndmask_b32_e32 v14, 0x7c00, v14, vcc_lo
	v_cmp_gt_i32_e32 vcc_lo, 1, v28
	v_mul_f64 v[20:21], v[20:21], s[2:3]
	v_cndmask_b32_e32 v5, v22, v5, vcc_lo
	v_cmp_eq_u32_e32 vcc_lo, 0x40f, v24
	v_cvt_f64_f32_e32 v[22:23], v0
	v_lshrrev_b32_e32 v0, 16, v6
	v_add_nc_u32_e32 v24, 0xfffffc10, v27
	v_and_b32_e32 v6, 7, v5
	v_cndmask_b32_e32 v8, v14, v8, vcc_lo
	v_cmp_ne_u32_e32 vcc_lo, v26, v29
	v_lshrrev_b32_e32 v5, 2, v5
	v_and_or_b32 v0, 0x8000, v0, v3
	v_cmp_eq_u32_e64 s0, 3, v6
	v_and_or_b32 v8, 0x8000, v9, v8
	v_cndmask_b32_e64 v14, 0, 1, vcc_lo
	v_cmp_lt_i32_e32 vcc_lo, 5, v6
	v_and_b32_e32 v0, 0xffff, v0
	v_or_b32_e32 v6, v25, v14
	s_or_b32 vcc_lo, s0, vcc_lo
	v_lshl_or_b32 v14, v24, 12, v18
	v_add_co_ci_u32_e32 v25, vcc_lo, 0, v5, vcc_lo
	v_cmp_gt_i32_e32 vcc_lo, 1, v24
	v_and_or_b32 v3, 0x1ff, v21, v20
	v_bfe_u32 v26, v21, 20, 11
	v_cndmask_b32_e32 v14, v14, v6, vcc_lo
	v_cmp_ne_u32_e32 vcc_lo, 0, v10
	v_mul_f64 v[5:6], v[22:23], s[2:3]
	v_cmp_ne_u32_e64 s0, 0, v3
	v_and_b32_e32 v20, 7, v14
	v_cndmask_b32_e64 v10, 0, 1, vcc_lo
	v_cmp_gt_i32_e32 vcc_lo, 31, v28
	v_cndmask_b32_e64 v3, 0, 1, s0
	v_lshrrev_b32_e32 v14, 2, v14
	v_cmp_eq_u32_e64 s0, 3, v20
	v_lshl_or_b32 v23, v10, 9, 0x7c00
	ds_read2_b32 v[9:10], v83 offset0:64 offset1:224
	v_cndmask_b32_e32 v22, 0x7c00, v25, vcc_lo
	v_lshrrev_b32_e32 v25, 8, v21
	v_cmp_lt_i32_e32 vcc_lo, 5, v20
	v_lshrrev_b32_e32 v21, 16, v21
	v_cndmask_b32_e64 v20, v22, v23, s1
	v_and_or_b32 v3, 0xffe, v25, v3
	v_sub_nc_u32_e32 v22, 0x3f1, v26
	s_or_b32 vcc_lo, s0, vcc_lo
	v_add_nc_u32_e32 v26, 0xfffffc10, v26
	v_add_co_ci_u32_e32 v14, vcc_lo, 0, v14, vcc_lo
	v_or_b32_e32 v23, 0x1000, v3
	v_med3_i32 v22, v22, 0, 13
	v_and_or_b32 v5, 0x1ff, v6, v5
	v_cmp_gt_i32_e32 vcc_lo, 31, v24
	v_lshrrev_b32_e32 v27, 8, v6
	v_bfe_u32 v28, v6, 20, 11
	v_lshrrev_b32_e32 v25, v22, v23
	s_waitcnt lgkmcnt(0)
	v_lshrrev_b32_e32 v29, 16, v9
	v_cndmask_b32_e32 v14, 0x7c00, v14, vcc_lo
	v_cmp_ne_u32_e32 vcc_lo, 0, v5
	v_and_or_b32 v11, 0x8000, v11, v20
	v_lshlrev_b32_e32 v22, v22, v25
	v_mul_f16_sdwa v30, v75, v29 dst_sel:DWORD dst_unused:UNUSED_PAD src0_sel:WORD_1 src1_sel:DWORD
	v_add_nc_u32_e32 v20, 0xfffffc10, v28
	v_cndmask_b32_e64 v5, 0, 1, vcc_lo
	v_cmp_ne_u32_e32 vcc_lo, 0, v18
	v_fmac_f16_e32 v30, v75, v9
	v_mul_f16_sdwa v9, v75, v9 dst_sel:DWORD dst_unused:UNUSED_PAD src0_sel:WORD_1 src1_sel:DWORD
	v_and_or_b32 v5, 0xffe, v27, v5
	v_cndmask_b32_e64 v18, 0, 1, vcc_lo
	v_sub_nc_u32_e32 v27, 0x3f1, v28
	v_cmp_ne_u32_e32 vcc_lo, v22, v23
	v_cvt_f32_f16_e32 v23, v30
	v_or_b32_e32 v31, 0x1000, v5
	v_lshl_or_b32 v18, v18, 9, 0x7c00
	v_med3_i32 v27, v27, 0, 13
	v_cndmask_b32_e64 v22, 0, 1, vcc_lo
	v_cmp_eq_u32_e32 vcc_lo, 0x40f, v24
	v_lshl_or_b32 v24, v26, 12, v3
	v_fma_f16 v9, v75, v29, -v9
	v_lshrrev_b32_e32 v32, v27, v31
	v_cmp_gt_i32_e64 s1, 1, v20
	v_cndmask_b32_e32 v14, v14, v18, vcc_lo
	v_or_b32_e32 v18, v25, v22
	v_cmp_gt_i32_e32 vcc_lo, 1, v26
	v_cvt_f64_f32_e32 v[22:23], v23
	v_lshlrev_b32_e32 v25, v27, v32
	v_cvt_f32_f16_e32 v9, v9
	v_lshrrev_b32_e32 v30, 16, v6
	v_cndmask_b32_e32 v18, v24, v18, vcc_lo
	v_lshl_or_b32 v24, v8, 16, v0
	v_and_or_b32 v0, 0x8000, v19, v14
	v_cmp_ne_u32_e32 vcc_lo, v25, v31
	v_and_b32_e32 v25, 0xffff, v11
	v_and_b32_e32 v14, 7, v18
	v_lshl_or_b32 v11, v20, 12, v5
	v_cndmask_b32_e64 v8, 0, 1, vcc_lo
	v_lshl_or_b32 v25, v0, 16, v25
	v_cmp_lt_i32_e32 vcc_lo, 5, v14
	v_cmp_eq_u32_e64 s0, 3, v14
	v_lshrrev_b32_e32 v14, 2, v18
	v_or_b32_e32 v8, v32, v8
	s_or_b32 vcc_lo, s0, vcc_lo
	v_add_co_ci_u32_e32 v14, vcc_lo, 0, v14, vcc_lo
	v_mul_f64 v[18:19], v[22:23], s[2:3]
	v_cmp_ne_u32_e32 vcc_lo, 0, v3
	v_cndmask_b32_e64 v8, v11, v8, s1
	v_cvt_f64_f32_e32 v[22:23], v9
	v_cmp_eq_u32_e64 s1, 0x40f, v26
	v_cndmask_b32_e64 v3, 0, 1, vcc_lo
	v_add_co_u32 v11, vcc_lo, v12, s5
	v_add_co_ci_u32_e32 v12, vcc_lo, s4, v13, vcc_lo
	v_and_b32_e32 v9, 7, v8
	v_cmp_gt_i32_e32 vcc_lo, 31, v26
	v_lshrrev_b32_e32 v0, 2, v8
	v_lshl_or_b32 v3, v3, 9, 0x7c00
	v_cmp_eq_u32_e64 s0, 3, v9
	v_cndmask_b32_e32 v13, 0x7c00, v14, vcc_lo
	v_cmp_lt_i32_e32 vcc_lo, 5, v9
	ds_read2_b32 v[8:9], v78 offset1:160
	v_and_or_b32 v18, 0x1ff, v19, v18
	s_or_b32 vcc_lo, s0, vcc_lo
	v_cndmask_b32_e64 v3, v13, v3, s1
	v_add_co_ci_u32_e32 v0, vcc_lo, 0, v0, vcc_lo
	v_cmp_ne_u32_e32 vcc_lo, 0, v5
	v_mul_f64 v[13:14], v[22:23], s[2:3]
	v_mad_u64_u32 v[22:23], null, s8, v72, 0
	v_lshrrev_b32_e32 v26, 8, v19
	v_cndmask_b32_e64 v5, 0, 1, vcc_lo
	v_cmp_ne_u32_e32 vcc_lo, 0, v18
	v_bfe_u32 v27, v19, 20, 11
	v_and_or_b32 v3, 0x8000, v21, v3
	v_lshrrev_b32_e32 v19, 16, v19
	v_lshl_or_b32 v5, v5, 9, 0x7c00
	v_cndmask_b32_e64 v18, 0, 1, vcc_lo
	v_cmp_gt_i32_e32 vcc_lo, 31, v20
	s_waitcnt lgkmcnt(0)
	v_lshrrev_b32_e32 v28, 16, v8
	v_and_b32_e32 v3, 0xffff, v3
	v_and_or_b32 v18, 0xffe, v26, v18
	v_cndmask_b32_e32 v0, 0x7c00, v0, vcc_lo
	v_cmp_eq_u32_e32 vcc_lo, 0x40f, v20
	v_mul_f16_sdwa v20, v74, v28 dst_sel:DWORD dst_unused:UNUSED_PAD src0_sel:WORD_1 src1_sel:DWORD
	v_sub_nc_u32_e32 v26, 0x3f1, v27
	v_add_nc_u32_e32 v27, 0xfffffc10, v27
	v_cndmask_b32_e32 v29, v0, v5, vcc_lo
	v_mov_b32_e32 v0, v23
	v_fmac_f16_e32 v20, v74, v8
	v_or_b32_e32 v23, 0x1000, v18
	v_med3_i32 v26, v26, 0, 13
	v_and_or_b32 v13, 0x1ff, v14, v13
	v_mad_u64_u32 v[5:6], null, s9, v72, v[0:1]
	v_cvt_f32_f16_e32 v6, v20
	v_lshrrev_b32_e32 v0, v26, v23
	v_cmp_ne_u32_e32 vcc_lo, 0, v13
	v_lshrrev_b32_e32 v31, 8, v14
	v_bfe_u32 v32, v14, 20, 11
	v_cvt_f64_f32_e32 v[20:21], v6
	v_lshlrev_b32_e32 v26, v26, v0
	v_cndmask_b32_e64 v13, 0, 1, vcc_lo
	v_and_or_b32 v29, 0x8000, v30, v29
	v_sub_nc_u32_e32 v6, 0x3f1, v32
	v_mul_f16_sdwa v8, v74, v8 dst_sel:DWORD dst_unused:UNUSED_PAD src0_sel:WORD_1 src1_sel:DWORD
	v_cmp_ne_u32_e32 vcc_lo, v26, v23
	v_and_or_b32 v13, 0xffe, v31, v13
	v_mov_b32_e32 v23, v5
	v_med3_i32 v31, v6, 0, 13
	v_lshl_or_b32 v3, v29, 16, v3
	v_cndmask_b32_e64 v26, 0, 1, vcc_lo
	v_or_b32_e32 v30, 0x1000, v13
	v_cmp_gt_i32_e32 vcc_lo, 1, v27
	v_lshlrev_b64 v[5:6], 2, v[22:23]
	v_fma_f16 v8, v74, v28, -v8
	v_or_b32_e32 v0, v0, v26
	v_lshl_or_b32 v26, v27, 12, v18
	v_lshrrev_b32_e32 v33, v31, v30
	v_lshrrev_b32_e32 v14, 16, v14
	v_cvt_f32_f16_e32 v8, v8
	v_mul_f64 v[20:21], v[20:21], s[2:3]
	v_cndmask_b32_e32 v0, v26, v0, vcc_lo
	v_lshlrev_b32_e32 v26, v31, v33
	v_add_co_u32 v22, vcc_lo, v11, s5
	v_add_co_ci_u32_e32 v23, vcc_lo, s4, v12, vcc_lo
	v_and_b32_e32 v29, 7, v0
	v_cmp_ne_u32_e64 s0, v26, v30
	v_add_co_u32 v5, vcc_lo, v16, v5
	v_add_co_ci_u32_e32 v6, vcc_lo, v17, v6, vcc_lo
	global_store_dword v[11:12], v24, off
	global_store_dword v[22:23], v25, off
	v_cmp_lt_i32_e32 vcc_lo, 5, v29
	v_cndmask_b32_e64 v11, 0, 1, s0
	v_cmp_eq_u32_e64 s0, 3, v29
	v_lshrrev_b32_e32 v0, 2, v0
	v_add_nc_u32_e32 v26, 0xfffffc10, v32
	v_cvt_f64_f32_e32 v[24:25], v8
	v_or_b32_e32 v28, v33, v11
	s_or_b32 vcc_lo, s0, vcc_lo
	v_and_or_b32 v8, 0x1ff, v21, v20
	v_add_co_ci_u32_e32 v0, vcc_lo, 0, v0, vcc_lo
	v_lshl_or_b32 v29, v26, 12, v13
	v_cmp_gt_i32_e64 s1, 1, v26
	v_cmp_ne_u32_e32 vcc_lo, 0, v18
	ds_read2_b32 v[11:12], v76 offset0:64 offset1:224
	global_store_dword v[5:6], v3, off
	v_bfe_u32 v18, v21, 20, 11
	v_cndmask_b32_e64 v20, v29, v28, s1
	v_cndmask_b32_e64 v3, 0, 1, vcc_lo
	v_cmp_ne_u32_e32 vcc_lo, 0, v8
	v_lshrrev_b32_e32 v8, 8, v21
	v_mad_u64_u32 v[22:23], null, 0xa00, s8, v[22:23]
	v_and_b32_e32 v5, 7, v20
	v_cndmask_b32_e64 v6, 0, 1, vcc_lo
	v_cmp_gt_i32_e32 vcc_lo, 31, v27
	v_lshl_or_b32 v3, v3, 9, 0x7c00
	v_mul_f64 v[24:25], v[24:25], s[2:3]
	v_cmp_eq_u32_e64 s0, 3, v5
	v_and_or_b32 v8, 0xffe, v8, v6
	v_cndmask_b32_e32 v0, 0x7c00, v0, vcc_lo
	v_cmp_lt_i32_e32 vcc_lo, 5, v5
	v_lshrrev_b32_e32 v5, 2, v20
	v_sub_nc_u32_e32 v6, 0x3f1, v18
	s_waitcnt lgkmcnt(0)
	v_lshrrev_b32_e32 v28, 16, v11
	v_or_b32_e32 v20, 0x1000, v8
	s_or_b32 vcc_lo, s0, vcc_lo
	v_add_nc_u32_e32 v23, s6, v23
	v_add_co_ci_u32_e32 v5, vcc_lo, 0, v5, vcc_lo
	v_cmp_ne_u32_e32 vcc_lo, 0, v13
	v_mul_f16_sdwa v29, v70, v28 dst_sel:DWORD dst_unused:UNUSED_PAD src0_sel:WORD_1 src1_sel:DWORD
	v_med3_i32 v6, v6, 0, 13
	v_cndmask_b32_e64 v13, 0, 1, vcc_lo
	v_cmp_eq_u32_e32 vcc_lo, 0x40f, v27
	v_fmac_f16_e32 v29, v70, v11
	v_lshrrev_b32_e32 v30, v6, v20
	v_mul_f16_sdwa v11, v70, v11 dst_sel:DWORD dst_unused:UNUSED_PAD src0_sel:WORD_1 src1_sel:DWORD
	v_lshl_or_b32 v13, v13, 9, 0x7c00
	v_cndmask_b32_e32 v0, v0, v3, vcc_lo
	v_cmp_gt_i32_e32 vcc_lo, 31, v26
	v_cvt_f32_f16_e32 v3, v29
	v_lshlrev_b32_e32 v27, v6, v30
	v_fma_f16 v11, v70, v28, -v11
	v_and_or_b32 v0, 0x8000, v19, v0
	v_cndmask_b32_e32 v29, 0x7c00, v5, vcc_lo
	v_cmp_eq_u32_e32 vcc_lo, 0x40f, v26
	v_cvt_f64_f32_e32 v[5:6], v3
	v_and_or_b32 v3, 0x1ff, v25, v24
	v_add_nc_u32_e32 v24, 0xfffffc10, v18
	v_lshrrev_b32_e32 v18, 8, v25
	v_cndmask_b32_e32 v13, v29, v13, vcc_lo
	v_cmp_ne_u32_e32 vcc_lo, v27, v20
	v_bfe_u32 v26, v25, 20, 11
	v_and_b32_e32 v0, 0xffff, v0
	v_cndmask_b32_e64 v20, 0, 1, vcc_lo
	v_cmp_ne_u32_e32 vcc_lo, 0, v3
	v_sub_nc_u32_e32 v27, 0x3f1, v26
	v_or_b32_e32 v19, v30, v20
	v_cndmask_b32_e64 v3, 0, 1, vcc_lo
	v_lshl_or_b32 v20, v24, 12, v8
	v_cmp_gt_i32_e32 vcc_lo, 1, v24
	v_and_or_b32 v3, 0xffe, v18, v3
	v_cndmask_b32_e32 v20, v20, v19, vcc_lo
	v_mul_f64 v[18:19], v[5:6], s[2:3]
	v_med3_i32 v5, v27, 0, 13
	v_or_b32_e32 v28, 0x1000, v3
	v_cvt_f32_f16_e32 v6, v11
	v_and_b32_e32 v27, 7, v20
	v_and_or_b32 v11, 0x8000, v14, v13
	v_lshrrev_b32_e32 v20, 2, v20
	v_lshrrev_b32_e32 v29, v5, v28
	v_cvt_f64_f32_e32 v[13:14], v6
	v_cmp_lt_i32_e32 vcc_lo, 5, v27
	v_cmp_eq_u32_e64 s0, 3, v27
	v_lshl_or_b32 v0, v11, 16, v0
	v_lshlrev_b32_e32 v11, v5, v29
	ds_read2_b32 v[5:6], v73 offset1:160
	s_or_b32 vcc_lo, s0, vcc_lo
	global_store_dword v[22:23], v0, off
	v_add_co_ci_u32_e32 v20, vcc_lo, 0, v20, vcc_lo
	v_cmp_ne_u32_e32 vcc_lo, v11, v28
	v_add_nc_u32_e32 v28, 0xfffffc10, v26
	v_and_or_b32 v18, 0x1ff, v19, v18
	v_cndmask_b32_e64 v11, 0, 1, vcc_lo
	v_cmp_ne_u32_e32 vcc_lo, 0, v8
	v_or_b32_e32 v11, v29, v11
	v_cndmask_b32_e64 v8, 0, 1, vcc_lo
	v_cmp_gt_i32_e32 vcc_lo, 31, v24
	v_mul_f64 v[26:27], v[13:14], s[2:3]
	v_lshl_or_b32 v29, v28, 12, v3
	s_waitcnt lgkmcnt(0)
	v_lshrrev_b32_e32 v30, 16, v5
	v_lshl_or_b32 v8, v8, 9, 0x7c00
	v_cndmask_b32_e32 v13, 0x7c00, v20, vcc_lo
	v_cmp_ne_u32_e32 vcc_lo, 0, v18
	v_lshrrev_b32_e32 v18, 8, v19
	v_bfe_u32 v20, v19, 20, 11
	v_lshrrev_b32_e32 v19, 16, v19
	v_cndmask_b32_e64 v14, 0, 1, vcc_lo
	v_cmp_gt_i32_e32 vcc_lo, 1, v28
	v_and_or_b32 v18, 0xffe, v18, v14
	v_sub_nc_u32_e32 v14, 0x3f1, v20
	v_cndmask_b32_e32 v11, v29, v11, vcc_lo
	v_mul_f16_sdwa v29, v69, v30 dst_sel:DWORD dst_unused:UNUSED_PAD src0_sel:WORD_1 src1_sel:DWORD
	v_cmp_eq_u32_e32 vcc_lo, 0x40f, v24
	v_or_b32_e32 v32, 0x1000, v18
	v_med3_i32 v14, v14, 0, 13
	v_and_b32_e32 v31, 7, v11
	v_fmac_f16_e32 v29, v69, v5
	v_lshrrev_b32_e32 v24, 16, v21
	v_and_or_b32 v26, 0x1ff, v27, v26
	v_lshrrev_b32_e32 v21, v14, v32
	v_cndmask_b32_e32 v8, v13, v8, vcc_lo
	v_cmp_lt_i32_e32 vcc_lo, 5, v31
	v_cmp_eq_u32_e64 s0, 3, v31
	v_cvt_f32_f16_e32 v13, v29
	v_lshrrev_b32_e32 v11, 2, v11
	v_lshlrev_b32_e32 v29, v14, v21
	v_cmp_ne_u32_e64 s1, 0, v26
	s_or_b32 vcc_lo, s0, vcc_lo
	v_cvt_f64_f32_e32 v[13:14], v13
	v_add_co_ci_u32_e32 v11, vcc_lo, 0, v11, vcc_lo
	v_cndmask_b32_e64 v26, 0, 1, s1
	v_lshrrev_b32_e32 v31, 8, v27
	v_bfe_u32 v33, v27, 20, 11
	v_cmp_ne_u32_e32 vcc_lo, v29, v32
	v_add_nc_u32_e32 v32, 0xfffffc10, v20
	v_mul_f16_sdwa v5, v69, v5 dst_sel:DWORD dst_unused:UNUSED_PAD src0_sel:WORD_1 src1_sel:DWORD
	v_and_or_b32 v26, 0xffe, v31, v26
	v_sub_nc_u32_e32 v31, 0x3f1, v33
	v_cndmask_b32_e64 v29, 0, 1, vcc_lo
	v_cmp_ne_u32_e32 vcc_lo, 0, v3
	v_fma_f16 v5, v69, v30, -v5
	v_and_or_b32 v8, 0x8000, v24, v8
	v_med3_i32 v31, v31, 0, 13
	v_or_b32_e32 v20, v21, v29
	v_cndmask_b32_e64 v3, 0, 1, vcc_lo
	v_or_b32_e32 v29, 0x1000, v26
	v_cmp_gt_i32_e32 vcc_lo, 31, v28
	v_lshl_or_b32 v21, v32, 12, v18
	v_cvt_f32_f16_e32 v5, v5
	v_lshl_or_b32 v3, v3, 9, 0x7c00
	v_lshrrev_b32_e32 v30, v31, v29
	v_cndmask_b32_e32 v11, 0x7c00, v11, vcc_lo
	v_cmp_gt_i32_e32 vcc_lo, 1, v32
	v_cmp_eq_u32_e64 s1, 0x40f, v32
	v_and_b32_e32 v8, 0xffff, v8
	v_lshlrev_b32_e32 v31, v31, v30
	v_cndmask_b32_e32 v34, v21, v20, vcc_lo
	v_mul_f64 v[20:21], v[13:14], s[2:3]
	v_cmp_eq_u32_e32 vcc_lo, 0x40f, v28
	v_cmp_ne_u32_e64 s0, v31, v29
	v_cvt_f64_f32_e32 v[13:14], v5
	v_and_b32_e32 v24, 7, v34
	v_lshrrev_b32_e32 v5, 16, v25
	v_cndmask_b32_e32 v3, v11, v3, vcc_lo
	v_cndmask_b32_e64 v11, 0, 1, s0
	v_add_nc_u32_e32 v28, 0xfffffc10, v33
	v_cmp_lt_i32_e32 vcc_lo, 5, v24
	v_cmp_eq_u32_e64 s0, 3, v24
	v_and_or_b32 v3, 0x8000, v5, v3
	v_lshrrev_b32_e32 v5, 2, v34
	v_or_b32_e32 v11, v30, v11
	v_lshl_or_b32 v24, v28, 12, v26
	s_or_b32 vcc_lo, s0, vcc_lo
	v_lshl_or_b32 v3, v3, 16, v8
	v_add_co_ci_u32_e32 v5, vcc_lo, 0, v5, vcc_lo
	v_cmp_ne_u32_e32 vcc_lo, 0, v18
	v_and_or_b32 v20, 0x1ff, v21, v20
	v_lshrrev_b32_e32 v29, 8, v21
	v_cndmask_b32_e64 v18, 0, 1, vcc_lo
	v_cmp_gt_i32_e32 vcc_lo, 1, v28
	v_bfe_u32 v30, v21, 20, 11
	v_lshrrev_b32_e32 v21, 16, v21
	v_lshl_or_b32 v18, v18, 9, 0x7c00
	v_cndmask_b32_e32 v11, v24, v11, vcc_lo
	v_cmp_ne_u32_e32 vcc_lo, 0, v20
	v_mul_f64 v[24:25], v[13:14], s[2:3]
	ds_read2_b32 v[13:14], v71 offset0:64 offset1:224
	v_and_b32_e32 v31, 7, v11
	v_cndmask_b32_e64 v20, 0, 1, vcc_lo
	v_cmp_gt_i32_e32 vcc_lo, 31, v32
	v_lshrrev_b32_e32 v11, 2, v11
	v_cmp_eq_u32_e64 s0, 3, v31
	v_and_or_b32 v20, 0xffe, v29, v20
	v_cndmask_b32_e32 v5, 0x7c00, v5, vcc_lo
	v_cmp_lt_i32_e32 vcc_lo, 5, v31
	v_sub_nc_u32_e32 v29, 0x3f1, v30
	v_cndmask_b32_e64 v5, v5, v18, s1
	s_or_b32 vcc_lo, s0, vcc_lo
	v_or_b32_e32 v18, 0x1000, v20
	v_add_co_ci_u32_e32 v11, vcc_lo, 0, v11, vcc_lo
	v_cmp_ne_u32_e32 vcc_lo, 0, v26
	v_med3_i32 v29, v29, 0, 13
	v_and_or_b32 v24, 0x1ff, v25, v24
	s_waitcnt lgkmcnt(0)
	v_lshrrev_b32_e32 v32, 16, v13
	v_lshrrev_b32_e32 v34, 8, v25
	v_cndmask_b32_e64 v26, 0, 1, vcc_lo
	v_cmp_gt_i32_e32 vcc_lo, 31, v28
	v_lshrrev_b32_e32 v31, v29, v18
	v_mul_f16_sdwa v33, v68, v32 dst_sel:DWORD dst_unused:UNUSED_PAD src0_sel:WORD_1 src1_sel:DWORD
	v_bfe_u32 v35, v25, 20, 11
	v_and_or_b32 v5, 0x8000, v19, v5
	v_cndmask_b32_e32 v11, 0x7c00, v11, vcc_lo
	v_cmp_ne_u32_e32 vcc_lo, 0, v24
	v_lshlrev_b32_e32 v29, v29, v31
	v_fmac_f16_e32 v33, v68, v13
	v_lshl_or_b32 v26, v26, 9, 0x7c00
	v_mul_f16_sdwa v0, v68, v13 dst_sel:DWORD dst_unused:UNUSED_PAD src0_sel:WORD_1 src1_sel:DWORD
	v_cndmask_b32_e64 v24, 0, 1, vcc_lo
	v_cmp_ne_u32_e32 vcc_lo, v29, v18
	v_add_nc_u32_e32 v29, 0xfffffc10, v30
	v_cvt_f32_f16_e32 v30, v33
	v_fma_f16 v0, v68, v32, -v0
	v_and_or_b32 v8, 0xffe, v34, v24
	v_sub_nc_u32_e32 v24, 0x3f1, v35
	v_cndmask_b32_e64 v18, 0, 1, vcc_lo
	v_lshl_or_b32 v34, v29, 12, v20
	v_cmp_gt_i32_e32 vcc_lo, 1, v29
	v_or_b32_e32 v33, 0x1000, v8
	v_med3_i32 v24, v24, 0, 13
	v_or_b32_e32 v31, v31, v18
	v_cvt_f64_f32_e32 v[18:19], v30
	v_cvt_f32_f16_e32 v0, v0
	v_and_b32_e32 v5, 0xffff, v5
	v_lshrrev_b32_e32 v30, v24, v33
	v_cndmask_b32_e32 v31, v34, v31, vcc_lo
	v_cmp_eq_u32_e32 vcc_lo, 0x40f, v28
	v_lshrrev_b32_e32 v28, 16, v27
	v_lshlrev_b32_e32 v24, v24, v30
	v_and_b32_e32 v34, 7, v31
	v_cndmask_b32_e32 v11, v11, v26, vcc_lo
	v_add_co_u32 v26, vcc_lo, v22, s5
	v_cmp_ne_u32_e64 s0, v24, v33
	v_add_co_ci_u32_e32 v27, vcc_lo, s4, v23, vcc_lo
	v_cmp_lt_i32_e32 vcc_lo, 5, v34
	v_lshrrev_b32_e32 v22, 2, v31
	v_cndmask_b32_e64 v13, 0, 1, s0
	v_cmp_eq_u32_e64 s0, 3, v34
	v_add_nc_u32_e32 v24, 0xfffffc10, v35
	v_and_or_b32 v11, 0x8000, v28, v11
	v_mul_f64 v[18:19], v[18:19], s[2:3]
	v_or_b32_e32 v13, v30, v13
	s_or_b32 vcc_lo, s0, vcc_lo
	v_lshl_or_b32 v23, v24, 12, v8
	v_add_co_ci_u32_e32 v28, vcc_lo, 0, v22, vcc_lo
	v_cmp_gt_i32_e32 vcc_lo, 1, v24
	global_store_dword v[26:27], v3, off
	v_lshl_or_b32 v5, v11, 16, v5
	v_lshrrev_b32_e32 v30, 16, v15
	v_add_co_u32 v26, s1, v26, s5
	v_cndmask_b32_e32 v13, v23, v13, vcc_lo
	v_cmp_ne_u32_e32 vcc_lo, 0, v20
	v_cvt_f64_f32_e32 v[22:23], v0
	v_mul_f16_sdwa v20, v67, v30 dst_sel:DWORD dst_unused:UNUSED_PAD src0_sel:WORD_1 src1_sel:DWORD
	v_add_co_ci_u32_e64 v27, s1, s4, v27, s1
	v_cndmask_b32_e64 v0, 0, 1, vcc_lo
	v_and_b32_e32 v3, 7, v13
	v_cmp_gt_i32_e32 vcc_lo, 31, v29
	v_fmac_f16_e32 v20, v67, v15
	v_mul_f16_sdwa v15, v67, v15 dst_sel:DWORD dst_unused:UNUSED_PAD src0_sel:WORD_1 src1_sel:DWORD
	v_lshl_or_b32 v0, v0, 9, 0x7c00
	v_cmp_eq_u32_e64 s0, 3, v3
	v_cndmask_b32_e32 v11, 0x7c00, v28, vcc_lo
	v_cmp_lt_i32_e32 vcc_lo, 5, v3
	v_lshrrev_b32_e32 v3, 2, v13
	v_and_or_b32 v13, 0x1ff, v19, v18
	v_lshrrev_b32_e32 v18, 8, v19
	v_cvt_f32_f16_e32 v20, v20
	s_or_b32 vcc_lo, s0, vcc_lo
	v_fma_f16 v15, v67, v30, -v15
	v_add_co_ci_u32_e32 v3, vcc_lo, 0, v3, vcc_lo
	v_cmp_ne_u32_e32 vcc_lo, 0, v8
	v_mul_f64 v[22:23], v[22:23], s[2:3]
	global_store_dword v[26:27], v5, off
	v_cvt_f32_f16_e32 v15, v15
	v_cndmask_b32_e64 v8, 0, 1, vcc_lo
	v_cmp_ne_u32_e32 vcc_lo, 0, v13
	v_lshl_or_b32 v8, v8, 9, 0x7c00
	v_cndmask_b32_e64 v13, 0, 1, vcc_lo
	v_cmp_eq_u32_e32 vcc_lo, 0x40f, v29
	v_mad_u64_u32 v[28:29], null, s8, v66, 0
	v_and_or_b32 v13, 0xffe, v18, v13
	v_cndmask_b32_e32 v0, v11, v0, vcc_lo
	v_bfe_u32 v11, v19, 20, 11
	v_cmp_gt_i32_e32 vcc_lo, 31, v24
	v_or_b32_e32 v31, 0x1000, v13
	v_and_or_b32 v33, 0x8000, v21, v0
	v_sub_nc_u32_e32 v18, 0x3f1, v11
	v_cndmask_b32_e32 v3, 0x7c00, v3, vcc_lo
	v_cmp_eq_u32_e32 vcc_lo, 0x40f, v24
	v_and_or_b32 v22, 0x1ff, v23, v22
	v_mov_b32_e32 v0, v29
	v_med3_i32 v18, v18, 0, 13
	v_cvt_f64_f32_e32 v[20:21], v20
	v_cndmask_b32_e32 v3, v3, v8, vcc_lo
	v_lshrrev_b32_e32 v8, 16, v25
	v_cmp_ne_u32_e32 vcc_lo, 0, v22
	v_lshrrev_b32_e32 v32, v18, v31
	v_mad_u64_u32 v[24:25], null, s9, v66, v[0:1]
	v_and_or_b32 v3, 0x8000, v8, v3
	v_cndmask_b32_e64 v0, 0, 1, vcc_lo
	v_lshlrev_b32_e32 v8, v18, v32
	v_add_nc_u32_e32 v11, 0xfffffc10, v11
	v_lshrrev_b32_e32 v18, 8, v23
	v_bfe_u32 v22, v23, 20, 11
	v_mov_b32_e32 v29, v24
	v_cmp_ne_u32_e32 vcc_lo, v8, v31
	v_lshl_or_b32 v24, v11, 12, v13
	v_and_or_b32 v0, 0xffe, v18, v0
	v_sub_nc_u32_e32 v18, 0x3f1, v22
	v_and_b32_e32 v25, 0xffff, v33
	v_cndmask_b32_e64 v8, 0, 1, vcc_lo
	v_cmp_gt_i32_e32 vcc_lo, 1, v11
	v_or_b32_e32 v31, 0x1000, v0
	v_med3_i32 v18, v18, 0, 13
	v_mul_f64 v[20:21], v[20:21], s[2:3]
	v_or_b32_e32 v8, v32, v8
	v_lshl_or_b32 v3, v3, 16, v25
	v_add_nc_u32_e32 v22, 0xfffffc10, v22
	v_lshrrev_b32_e32 v30, v18, v31
	v_cndmask_b32_e32 v8, v24, v8, vcc_lo
	v_lshlrev_b64 v[24:25], 2, v[28:29]
	v_cvt_f64_f32_e32 v[28:29], v15
	v_lshlrev_b32_e32 v18, v18, v30
	v_and_b32_e32 v5, 7, v8
	v_cmp_ne_u32_e64 s1, v18, v31
	v_lshl_or_b32 v18, v22, 12, v0
	v_cmp_lt_i32_e32 vcc_lo, 5, v5
	v_cmp_eq_u32_e64 s0, 3, v5
	v_lshrrev_b32_e32 v5, 2, v8
	v_cndmask_b32_e64 v8, 0, 1, s1
	s_or_b32 vcc_lo, s0, vcc_lo
	v_and_or_b32 v20, 0x1ff, v21, v20
	v_add_co_ci_u32_e32 v5, vcc_lo, 0, v5, vcc_lo
	v_cmp_ne_u32_e32 vcc_lo, 0, v13
	v_or_b32_e32 v8, v30, v8
	v_cndmask_b32_e64 v13, 0, 1, vcc_lo
	v_add_co_u32 v15, vcc_lo, v16, v24
	v_add_co_ci_u32_e32 v16, vcc_lo, v17, v25, vcc_lo
	v_cmp_gt_i32_e32 vcc_lo, 1, v22
	v_lshl_or_b32 v13, v13, 9, 0x7c00
	v_lshrrev_b32_e32 v24, 8, v21
	v_bfe_u32 v25, v21, 20, 11
	global_store_dword v[15:16], v3, off
	v_cndmask_b32_e32 v8, v18, v8, vcc_lo
	v_cmp_gt_i32_e32 vcc_lo, 31, v11
	v_mul_f64 v[17:18], v[28:29], s[2:3]
	v_lshrrev_b32_e32 v28, 16, v2
	v_and_b32_e32 v29, 7, v8
	v_cndmask_b32_e32 v5, 0x7c00, v5, vcc_lo
	v_cmp_ne_u32_e32 vcc_lo, 0, v20
	v_lshrrev_b32_e32 v8, 2, v8
	v_mul_f16_sdwa v30, v65, v28 dst_sel:DWORD dst_unused:UNUSED_PAD src0_sel:WORD_1 src1_sel:DWORD
	v_cmp_eq_u32_e64 s0, 3, v29
	v_cndmask_b32_e64 v20, 0, 1, vcc_lo
	v_cmp_eq_u32_e32 vcc_lo, 0x40f, v11
	v_fmac_f16_e32 v30, v65, v2
	v_mul_f16_sdwa v2, v65, v2 dst_sel:DWORD dst_unused:UNUSED_PAD src0_sel:WORD_1 src1_sel:DWORD
	v_and_or_b32 v24, 0xffe, v24, v20
	v_cndmask_b32_e32 v5, v5, v13, vcc_lo
	v_cmp_lt_i32_e32 vcc_lo, 5, v29
	v_sub_nc_u32_e32 v20, 0x3f1, v25
	v_lshrrev_b32_e32 v29, 16, v19
	v_or_b32_e32 v11, 0x1000, v24
	v_cvt_f32_f16_e32 v19, v30
	s_or_b32 vcc_lo, s0, vcc_lo
	v_med3_i32 v13, v20, 0, 13
	v_add_co_ci_u32_e32 v8, vcc_lo, 0, v8, vcc_lo
	v_cmp_ne_u32_e32 vcc_lo, 0, v0
	v_and_or_b32 v17, 0x1ff, v18, v17
	v_lshrrev_b32_e32 v31, v13, v11
	v_cvt_f64_f32_e32 v[19:20], v19
	v_lshrrev_b32_e32 v30, 8, v18
	v_cndmask_b32_e64 v0, 0, 1, vcc_lo
	v_cmp_gt_i32_e32 vcc_lo, 31, v22
	v_lshlrev_b32_e32 v13, v13, v31
	v_bfe_u32 v32, v18, 20, 11
	v_and_or_b32 v5, 0x8000, v29, v5
	v_lshl_or_b32 v0, v0, 9, 0x7c00
	v_cndmask_b32_e32 v8, 0x7c00, v8, vcc_lo
	v_cmp_ne_u32_e32 vcc_lo, 0, v17
	v_fma_f16 v2, v65, v28, -v2
	v_and_b32_e32 v5, 0xffff, v5
	v_cndmask_b32_e64 v17, 0, 1, vcc_lo
	v_cmp_ne_u32_e32 vcc_lo, v13, v11
	v_add_nc_u32_e32 v13, 0xfffffc10, v25
	v_sub_nc_u32_e32 v25, 0x3f1, v32
	v_cvt_f32_f16_e32 v2, v2
	v_and_or_b32 v17, 0xffe, v30, v17
	v_cndmask_b32_e64 v11, 0, 1, vcc_lo
	v_cmp_eq_u32_e32 vcc_lo, 0x40f, v22
	v_med3_i32 v25, v25, 0, 13
	v_lshl_or_b32 v30, v13, 12, v24
	v_mul_f64 v[19:20], v[19:20], s[2:3]
	v_or_b32_e32 v11, v31, v11
	v_or_b32_e32 v31, 0x1000, v17
	v_cndmask_b32_e32 v0, v8, v0, vcc_lo
	v_lshrrev_b32_e32 v8, 16, v23
	v_cmp_gt_i32_e32 vcc_lo, 1, v13
	v_cvt_f64_f32_e32 v[2:3], v2
	v_lshrrev_b32_e32 v22, v25, v31
	v_and_or_b32 v0, 0x8000, v8, v0
	v_cndmask_b32_e32 v11, v30, v11, vcc_lo
	v_lshrrev_b32_e32 v30, 16, v4
	v_lshlrev_b32_e32 v8, v25, v22
	v_lshrrev_b32_e32 v25, 16, v7
	v_lshl_or_b32 v0, v0, 16, v5
	v_and_b32_e32 v23, 7, v11
	v_lshrrev_b32_e32 v11, 2, v11
	v_cmp_ne_u32_e32 vcc_lo, v8, v31
	v_add_nc_u32_e32 v8, 0xfffffc10, v32
	v_cmp_eq_u32_e64 s0, 3, v23
	v_cndmask_b32_e64 v5, 0, 1, vcc_lo
	v_cmp_lt_i32_e32 vcc_lo, 5, v23
	v_lshl_or_b32 v15, v8, 12, v17
	v_and_or_b32 v19, 0x1ff, v20, v19
	v_lshrrev_b32_e32 v23, 8, v20
	v_or_b32_e32 v5, v22, v5
	s_or_b32 vcc_lo, s0, vcc_lo
	v_mul_f64 v[2:3], v[2:3], s[2:3]
	v_add_co_ci_u32_e32 v11, vcc_lo, 0, v11, vcc_lo
	v_cmp_ne_u32_e32 vcc_lo, 0, v24
	v_bfe_u32 v24, v20, 20, 11
	v_cndmask_b32_e64 v22, 0, 1, vcc_lo
	v_cmp_gt_i32_e32 vcc_lo, 1, v8
	v_cndmask_b32_e32 v5, v15, v5, vcc_lo
	v_cmp_ne_u32_e32 vcc_lo, 0, v19
	v_mad_u64_u32 v[15:16], null, 0xa00, s8, v[26:27]
	v_mul_f16_sdwa v27, v64, v25 dst_sel:DWORD dst_unused:UNUSED_PAD src0_sel:WORD_1 src1_sel:DWORD
	v_and_b32_e32 v26, 7, v5
	v_cndmask_b32_e64 v19, 0, 1, vcc_lo
	v_cmp_gt_i32_e32 vcc_lo, 31, v13
	v_lshrrev_b32_e32 v5, 2, v5
	v_fmac_f16_e32 v27, v64, v7
	v_cmp_eq_u32_e64 s0, 3, v26
	v_and_or_b32 v19, 0xffe, v23, v19
	v_cndmask_b32_e32 v11, 0x7c00, v11, vcc_lo
	v_cmp_lt_i32_e32 vcc_lo, 5, v26
	v_sub_nc_u32_e32 v23, 0x3f1, v24
	v_lshl_or_b32 v26, v22, 9, 0x7c00
	v_or_b32_e32 v28, 0x1000, v19
	v_cvt_f32_f16_e32 v22, v27
	s_or_b32 vcc_lo, s0, vcc_lo
	v_med3_i32 v29, v23, 0, 13
	v_add_co_ci_u32_e32 v5, vcc_lo, 0, v5, vcc_lo
	v_cmp_ne_u32_e32 vcc_lo, 0, v17
	v_cvt_f64_f32_e32 v[22:23], v22
	v_lshrrev_b32_e32 v27, v29, v28
	v_and_or_b32 v2, 0x1ff, v3, v2
	v_add_nc_u32_e32 v24, 0xfffffc10, v24
	v_cndmask_b32_e64 v17, 0, 1, vcc_lo
	v_cmp_gt_i32_e32 vcc_lo, 31, v8
	v_lshlrev_b32_e32 v29, v29, v27
	v_mul_f16_sdwa v7, v64, v7 dst_sel:DWORD dst_unused:UNUSED_PAD src0_sel:WORD_1 src1_sel:DWORD
	v_add_nc_u32_e32 v16, s6, v16
	v_lshl_or_b32 v17, v17, 9, 0x7c00
	v_cndmask_b32_e32 v5, 0x7c00, v5, vcc_lo
	v_cmp_eq_u32_e32 vcc_lo, 0x40f, v13
	v_lshrrev_b32_e32 v13, 16, v21
	v_lshrrev_b32_e32 v21, 16, v18
	v_fma_f16 v7, v64, v25, -v7
	v_cndmask_b32_e32 v11, v11, v26, vcc_lo
	v_cmp_eq_u32_e32 vcc_lo, 0x40f, v8
	v_bfe_u32 v26, v3, 20, 11
	v_cvt_f32_f16_e32 v7, v7
	v_and_or_b32 v11, 0x8000, v13, v11
	v_cndmask_b32_e32 v5, v5, v17, vcc_lo
	v_cmp_ne_u32_e32 vcc_lo, v29, v28
	v_lshrrev_b32_e32 v17, 8, v3
	v_lshrrev_b32_e32 v3, 16, v3
	v_and_or_b32 v5, 0x8000, v21, v5
	v_cndmask_b32_e64 v8, 0, 1, vcc_lo
	v_cmp_ne_u32_e32 vcc_lo, 0, v2
	v_or_b32_e32 v8, v27, v8
	v_cndmask_b32_e64 v2, 0, 1, vcc_lo
	v_cmp_gt_i32_e32 vcc_lo, 1, v24
	v_sub_nc_u32_e32 v27, 0x3f1, v26
	v_and_or_b32 v2, 0xffe, v17, v2
	v_mul_f64 v[17:18], v[22:23], s[2:3]
	v_lshl_or_b32 v22, v24, 12, v19
	v_med3_i32 v27, v27, 0, 13
	v_or_b32_e32 v23, 0x1000, v2
	v_cndmask_b32_e32 v13, v22, v8, vcc_lo
	v_and_b32_e32 v8, 0xffff, v11
	v_mad_u64_u32 v[21:22], null, 0xffffd580, s8, v[15:16]
	v_lshrrev_b32_e32 v25, v27, v23
	v_and_b32_e32 v11, 7, v13
	v_lshl_or_b32 v28, v5, 16, v8
	v_cvt_f64_f32_e32 v[7:8], v7
	v_lshrrev_b32_e32 v5, 2, v13
	v_lshlrev_b32_e32 v27, v27, v25
	v_cmp_lt_i32_e32 vcc_lo, 5, v11
	v_cmp_eq_u32_e64 s0, 3, v11
	v_cmp_ne_u32_e64 s1, v27, v23
	v_and_or_b32 v11, 0x1ff, v18, v17
	s_or_b32 vcc_lo, s0, vcc_lo
	v_add_nc_u32_e32 v17, 0xfffffc10, v26
	v_add_co_ci_u32_e32 v5, vcc_lo, 0, v5, vcc_lo
	v_cmp_ne_u32_e32 vcc_lo, 0, v11
	v_cndmask_b32_e64 v13, 0, 1, s1
	v_lshrrev_b32_e32 v23, 8, v18
	v_bfe_u32 v26, v18, 20, 11
	s_mul_i32 s0, s9, 0xffffd580
	v_cndmask_b32_e64 v11, 0, 1, vcc_lo
	v_cmp_ne_u32_e32 vcc_lo, 0, v19
	v_or_b32_e32 v13, v25, v13
	v_lshl_or_b32 v25, v17, 12, v2
	v_mul_f64 v[7:8], v[7:8], s[2:3]
	v_and_or_b32 v11, 0xffe, v23, v11
	v_cndmask_b32_e64 v19, 0, 1, vcc_lo
	v_cmp_gt_i32_e32 vcc_lo, 31, v24
	v_sub_nc_u32_e32 v23, 0x3f1, v26
	s_sub_i32 s6, s0, s8
	v_cmp_eq_u32_e64 s1, 0x40f, v17
	v_lshl_or_b32 v19, v19, 9, 0x7c00
	v_cndmask_b32_e32 v5, 0x7c00, v5, vcc_lo
	v_cmp_gt_i32_e32 vcc_lo, 1, v17
	v_med3_i32 v23, v23, 0, 13
	v_add_nc_u32_e32 v22, s6, v22
	global_store_dword v[15:16], v0, off
	global_store_dword v[21:22], v28, off
	v_cndmask_b32_e32 v13, v25, v13, vcc_lo
	v_or_b32_e32 v25, 0x1000, v11
	v_cmp_eq_u32_e32 vcc_lo, 0x40f, v24
	v_lshrrev_b32_e32 v0, 16, v1
	v_and_b32_e32 v27, 7, v13
	v_lshrrev_b32_e32 v29, v23, v25
	v_cndmask_b32_e32 v5, v5, v19, vcc_lo
	v_lshrrev_b32_e32 v19, 16, v20
	v_lshrrev_b32_e32 v13, 2, v13
	v_cmp_lt_i32_e32 vcc_lo, 5, v27
	v_cmp_eq_u32_e64 s0, 3, v27
	v_lshlrev_b32_e32 v23, v23, v29
	v_mul_f16_sdwa v20, v63, v30 dst_sel:DWORD dst_unused:UNUSED_PAD src0_sel:WORD_1 src1_sel:DWORD
	v_and_or_b32 v24, 0x8000, v19, v5
	v_and_or_b32 v5, 0x1ff, v8, v7
	s_or_b32 vcc_lo, s0, vcc_lo
	v_mul_f16_sdwa v16, v62, v0 dst_sel:DWORD dst_unused:UNUSED_PAD src0_sel:WORD_1 src1_sel:DWORD
	v_add_co_ci_u32_e32 v7, vcc_lo, 0, v13, vcc_lo
	v_cmp_ne_u32_e32 vcc_lo, v23, v25
	v_fmac_f16_e32 v20, v63, v4
	v_add_nc_u32_e32 v23, 0xfffffc10, v26
	v_lshrrev_b32_e32 v25, 8, v8
	v_bfe_u32 v26, v8, 20, 11
	v_cndmask_b32_e64 v13, 0, 1, vcc_lo
	v_cmp_ne_u32_e32 vcc_lo, 0, v5
	v_cvt_f32_f16_e32 v19, v20
	v_lshl_or_b32 v27, v23, 12, v11
	v_mul_f16_sdwa v4, v63, v4 dst_sel:DWORD dst_unused:UNUSED_PAD src0_sel:WORD_1 src1_sel:DWORD
	v_or_b32_e32 v13, v29, v13
	v_cndmask_b32_e64 v5, 0, 1, vcc_lo
	v_cmp_gt_i32_e32 vcc_lo, 1, v23
	v_cvt_f64_f32_e32 v[19:20], v19
	v_fma_f16 v4, v63, v30, -v4
	v_and_b32_e32 v24, 0xffff, v24
	v_and_or_b32 v25, 0xffe, v25, v5
	v_sub_nc_u32_e32 v5, 0x3f1, v26
	v_cndmask_b32_e32 v13, v27, v13, vcc_lo
	v_cmp_ne_u32_e32 vcc_lo, 0, v2
	v_fmac_f16_e32 v16, v62, v1
	v_or_b32_e32 v27, 0x1000, v25
	v_med3_i32 v5, v5, 0, 13
	v_and_b32_e32 v29, 7, v13
	v_cndmask_b32_e64 v2, 0, 1, vcc_lo
	v_cmp_gt_i32_e32 vcc_lo, 31, v17
	v_lshrrev_b32_e32 v13, 2, v13
	v_lshrrev_b32_e32 v30, v5, v27
	v_cmp_eq_u32_e64 s0, 3, v29
	v_lshl_or_b32 v2, v2, 9, 0x7c00
	v_cndmask_b32_e32 v7, 0x7c00, v7, vcc_lo
	v_cmp_lt_i32_e32 vcc_lo, 5, v29
	v_cvt_f32_f16_e32 v29, v4
	v_add_nc_u32_e32 v17, 0xfffffc10, v26
	v_mul_f16_sdwa v1, v62, v1 dst_sel:DWORD dst_unused:UNUSED_PAD src0_sel:WORD_1 src1_sel:DWORD
	v_cndmask_b32_e64 v2, v7, v2, s1
	v_lshlrev_b32_e32 v7, v5, v30
	s_or_b32 vcc_lo, s0, vcc_lo
	v_mul_f64 v[4:5], v[19:20], s[2:3]
	v_cvt_f64_f32_e32 v[19:20], v29
	v_add_co_ci_u32_e32 v13, vcc_lo, 0, v13, vcc_lo
	v_cmp_ne_u32_e32 vcc_lo, v7, v27
	v_lshl_or_b32 v26, v17, 12, v25
	v_and_or_b32 v27, 0x8000, v3, v2
	v_cndmask_b32_e64 v7, 0, 1, vcc_lo
	v_cmp_ne_u32_e32 vcc_lo, 0, v11
	v_or_b32_e32 v7, v30, v7
	v_cndmask_b32_e64 v11, 0, 1, vcc_lo
	v_cmp_gt_i32_e32 vcc_lo, 31, v23
	v_lshl_or_b32 v11, v11, 9, 0x7c00
	v_cndmask_b32_e32 v13, 0x7c00, v13, vcc_lo
	v_cmp_gt_i32_e32 vcc_lo, 1, v17
	v_and_or_b32 v4, 0x1ff, v5, v4
	v_mul_f64 v[2:3], v[19:20], s[2:3]
	v_lshrrev_b32_e32 v15, 8, v5
	v_bfe_u32 v20, v5, 20, 11
	v_cndmask_b32_e32 v7, v26, v7, vcc_lo
	v_cmp_eq_u32_e32 vcc_lo, 0x40f, v23
	v_cmp_ne_u32_e64 s0, 0, v4
	v_lshl_or_b32 v19, v27, 16, v24
	v_lshrrev_b32_e32 v5, 16, v5
	v_cndmask_b32_e32 v11, v13, v11, vcc_lo
	v_lshrrev_b32_e32 v13, 16, v18
	v_and_b32_e32 v18, 7, v7
	v_cndmask_b32_e64 v4, 0, 1, s0
	v_lshrrev_b32_e32 v7, 2, v7
	v_and_or_b32 v11, 0x8000, v13, v11
	v_cmp_lt_i32_e32 vcc_lo, 5, v18
	v_cmp_eq_u32_e64 s0, 3, v18
	v_and_or_b32 v4, 0xffe, v15, v4
	v_sub_nc_u32_e32 v15, 0x3f1, v20
	v_add_nc_u32_e32 v20, 0xfffffc10, v20
	v_and_b32_e32 v11, 0xffff, v11
	s_or_b32 vcc_lo, s0, vcc_lo
	v_or_b32_e32 v18, 0x1000, v4
	v_add_co_ci_u32_e32 v7, vcc_lo, 0, v7, vcc_lo
	v_cmp_ne_u32_e32 vcc_lo, 0, v25
	v_med3_i32 v23, v15, 0, 13
	v_and_or_b32 v2, 0x1ff, v3, v2
	v_cvt_f32_f16_e32 v15, v16
	v_lshrrev_b32_e32 v26, 8, v3
	v_cndmask_b32_e64 v24, 0, 1, vcc_lo
	v_cmp_gt_i32_e32 vcc_lo, 31, v17
	v_lshrrev_b32_e32 v25, v23, v18
	v_bfe_u32 v27, v3, 20, 11
	v_cvt_f64_f32_e32 v[15:16], v15
	v_lshl_or_b32 v24, v24, 9, 0x7c00
	v_cndmask_b32_e32 v7, 0x7c00, v7, vcc_lo
	v_cmp_ne_u32_e32 vcc_lo, 0, v2
	v_lshlrev_b32_e32 v23, v23, v25
	v_sub_nc_u32_e32 v13, 0x3f1, v27
	v_cndmask_b32_e64 v2, 0, 1, vcc_lo
	v_cmp_ne_u32_e32 vcc_lo, v23, v18
	v_med3_i32 v13, v13, 0, 13
	v_and_or_b32 v2, 0xffe, v26, v2
	v_cndmask_b32_e64 v18, 0, 1, vcc_lo
	v_cmp_eq_u32_e32 vcc_lo, 0x40f, v17
	v_or_b32_e32 v23, 0x1000, v2
	v_or_b32_e32 v18, v25, v18
	v_cndmask_b32_e32 v17, v7, v24, vcc_lo
	v_lshl_or_b32 v25, v20, 12, v4
	v_cmp_gt_i32_e32 vcc_lo, 1, v20
	v_lshrrev_b32_e32 v26, v13, v23
	v_lshrrev_b32_e32 v24, 16, v8
	v_mul_f64 v[7:8], v[15:16], s[2:3]
	v_fma_f16 v15, v62, v0, -v1
	v_cndmask_b32_e32 v18, v25, v18, vcc_lo
	v_lshlrev_b32_e32 v13, v13, v26
	v_and_or_b32 v17, 0x8000, v24, v17
	v_add_co_u32 v0, vcc_lo, v21, s5
	v_and_b32_e32 v24, 7, v18
	v_cmp_ne_u32_e64 s0, v13, v23
	v_add_co_ci_u32_e32 v1, vcc_lo, s4, v22, vcc_lo
	v_cvt_f32_f16_e32 v15, v15
	v_cmp_lt_i32_e32 vcc_lo, 5, v24
	v_cndmask_b32_e64 v13, 0, 1, s0
	v_cmp_eq_u32_e64 s0, 3, v24
	v_lshrrev_b32_e32 v18, 2, v18
	v_cvt_f64_f32_e32 v[15:16], v15
	v_add_nc_u32_e32 v21, 0xfffffc10, v27
	v_or_b32_e32 v13, v26, v13
	s_or_b32 vcc_lo, s0, vcc_lo
	v_lshl_or_b32 v11, v17, 16, v11
	v_add_co_ci_u32_e32 v18, vcc_lo, 0, v18, vcc_lo
	v_cmp_ne_u32_e32 vcc_lo, 0, v4
	v_lshl_or_b32 v22, v21, 12, v2
	v_and_or_b32 v7, 0x1ff, v8, v7
	v_bfe_u32 v23, v8, 20, 11
	global_store_dword v[0:1], v19, off
	v_cndmask_b32_e64 v4, 0, 1, vcc_lo
	v_cmp_gt_i32_e32 vcc_lo, 1, v21
	v_lshl_or_b32 v4, v4, 9, 0x7c00
	v_cndmask_b32_e32 v13, v22, v13, vcc_lo
	v_cmp_gt_i32_e32 vcc_lo, 31, v20
	v_lshrrev_b32_e32 v22, 8, v8
	v_lshrrev_b32_e32 v8, 16, v8
	v_mul_f64 v[15:16], v[15:16], s[2:3]
	v_cndmask_b32_e32 v17, 0x7c00, v18, vcc_lo
	v_cmp_ne_u32_e32 vcc_lo, 0, v7
	v_and_b32_e32 v18, 7, v13
	v_lshrrev_b32_e32 v13, 2, v13
	v_cndmask_b32_e64 v7, 0, 1, vcc_lo
	v_cmp_eq_u32_e32 vcc_lo, 0x40f, v20
	v_cmp_eq_u32_e64 s0, 3, v18
	v_lshrrev_b32_e32 v20, 16, v10
	v_and_or_b32 v7, 0xffe, v22, v7
	v_cndmask_b32_e32 v4, v17, v4, vcc_lo
	v_cmp_lt_i32_e32 vcc_lo, 5, v18
	v_sub_nc_u32_e32 v17, 0x3f1, v23
	v_mul_f16_sdwa v22, v61, v20 dst_sel:DWORD dst_unused:UNUSED_PAD src0_sel:WORD_1 src1_sel:DWORD
	v_or_b32_e32 v18, 0x1000, v7
	v_and_or_b32 v25, 0x8000, v5, v4
	s_or_b32 vcc_lo, s0, vcc_lo
	v_med3_i32 v17, v17, 0, 13
	v_add_co_ci_u32_e32 v13, vcc_lo, 0, v13, vcc_lo
	v_cmp_ne_u32_e32 vcc_lo, 0, v2
	v_and_or_b32 v15, 0x1ff, v16, v15
	v_lshrrev_b32_e32 v24, v17, v18
	v_fmac_f16_e32 v22, v61, v10
	v_mul_f16_sdwa v10, v61, v10 dst_sel:DWORD dst_unused:UNUSED_PAD src0_sel:WORD_1 src1_sel:DWORD
	v_cndmask_b32_e64 v2, 0, 1, vcc_lo
	v_cmp_gt_i32_e32 vcc_lo, 31, v21
	v_lshlrev_b32_e32 v17, v17, v24
	v_cvt_f32_f16_e32 v22, v22
	v_lshl_or_b32 v2, v2, 9, 0x7c00
	v_cndmask_b32_e32 v13, 0x7c00, v13, vcc_lo
	v_cmp_eq_u32_e32 vcc_lo, 0x40f, v21
	v_bfe_u32 v21, v16, 20, 11
	v_cvt_f64_f32_e32 v[4:5], v22
	v_lshrrev_b32_e32 v22, 16, v3
	v_cndmask_b32_e32 v13, v13, v2, vcc_lo
	v_cmp_ne_u32_e32 vcc_lo, 0, v15
	v_lshrrev_b32_e32 v15, 8, v16
	v_lshrrev_b32_e32 v16, 16, v16
	v_and_or_b32 v13, 0x8000, v22, v13
	v_cndmask_b32_e64 v2, 0, 1, vcc_lo
	v_cmp_ne_u32_e32 vcc_lo, v17, v18
	v_add_nc_u32_e32 v18, 0xfffffc10, v23
	v_and_b32_e32 v22, 0xffff, v25
	v_and_or_b32 v15, 0xffe, v15, v2
	v_sub_nc_u32_e32 v2, 0x3f1, v21
	v_cndmask_b32_e64 v17, 0, 1, vcc_lo
	v_lshl_or_b32 v23, v18, 12, v7
	v_lshl_or_b32 v13, v13, 16, v22
	v_med3_i32 v26, v2, 0, 13
	v_add_co_u32 v2, vcc_lo, v0, s5
	v_add_co_ci_u32_e32 v3, vcc_lo, s4, v1, vcc_lo
	v_or_b32_e32 v17, v24, v17
	v_cmp_gt_i32_e32 vcc_lo, 1, v18
	v_or_b32_e32 v24, 0x1000, v15
	v_mul_f64 v[4:5], v[4:5], s[2:3]
	v_fma_f16 v0, v61, v20, -v10
	global_store_dword v[2:3], v11, off
	v_cndmask_b32_e32 v17, v23, v17, vcc_lo
	v_lshrrev_b32_e32 v23, v26, v24
	v_cvt_f32_f16_e32 v0, v0
	v_and_b32_e32 v1, 7, v17
	v_lshlrev_b32_e32 v10, v26, v23
	v_lshrrev_b32_e32 v11, 2, v17
	v_add_nc_u32_e32 v17, 0xfffffc10, v21
	v_cmp_lt_i32_e32 vcc_lo, 5, v1
	v_cmp_eq_u32_e64 s0, 3, v1
	v_cmp_ne_u32_e64 s1, v10, v24
	v_cvt_f64_f32_e32 v[0:1], v0
	v_lshl_or_b32 v19, v17, 12, v15
	s_or_b32 vcc_lo, s0, vcc_lo
	v_cndmask_b32_e64 v10, 0, 1, s1
	v_add_co_ci_u32_e32 v11, vcc_lo, 0, v11, vcc_lo
	v_cmp_ne_u32_e32 vcc_lo, 0, v7
	v_and_or_b32 v4, 0x1ff, v5, v4
	v_or_b32_e32 v10, v23, v10
	v_bfe_u32 v20, v5, 20, 11
	v_cmp_eq_u32_e64 s1, 0x40f, v18
	v_cndmask_b32_e64 v7, 0, 1, vcc_lo
	v_add_co_u32 v2, vcc_lo, v2, s5
	v_add_co_ci_u32_e32 v3, vcc_lo, s4, v3, vcc_lo
	v_cmp_gt_i32_e32 vcc_lo, 1, v17
	v_sub_nc_u32_e32 v22, 0x3f1, v20
	v_lshl_or_b32 v7, v7, 9, 0x7c00
	v_add_nc_u32_e32 v20, 0xfffffc10, v20
	global_store_dword v[2:3], v13, off
	v_cndmask_b32_e32 v10, v19, v10, vcc_lo
	v_cmp_gt_i32_e32 vcc_lo, 31, v18
	v_lshrrev_b32_e32 v19, 8, v5
	v_mul_f64 v[0:1], v[0:1], s[2:3]
	v_med3_i32 v22, v22, 0, 13
	v_and_b32_e32 v21, 7, v10
	v_cndmask_b32_e32 v11, 0x7c00, v11, vcc_lo
	v_cmp_ne_u32_e32 vcc_lo, 0, v4
	v_lshrrev_b32_e32 v10, 2, v10
	v_lshrrev_b32_e32 v5, 16, v5
	v_cmp_eq_u32_e64 s0, 3, v21
	v_cndmask_b32_e64 v7, v11, v7, s1
	v_cndmask_b32_e64 v4, 0, 1, vcc_lo
	v_cmp_lt_i32_e32 vcc_lo, 5, v21
	v_and_or_b32 v4, 0xffe, v19, v4
	v_lshrrev_b32_e32 v19, 16, v9
	s_or_b32 vcc_lo, s0, vcc_lo
	v_add_co_ci_u32_e32 v10, vcc_lo, 0, v10, vcc_lo
	v_or_b32_e32 v21, 0x1000, v4
	v_mul_f16_sdwa v23, v60, v19 dst_sel:DWORD dst_unused:UNUSED_PAD src0_sel:WORD_1 src1_sel:DWORD
	v_cmp_ne_u32_e32 vcc_lo, 0, v15
	v_and_or_b32 v0, 0x1ff, v1, v0
	v_bfe_u32 v24, v1, 20, 11
	v_lshrrev_b32_e32 v18, v22, v21
	v_fmac_f16_e32 v23, v60, v9
	v_cndmask_b32_e64 v15, 0, 1, vcc_lo
	v_cmp_gt_i32_e32 vcc_lo, 31, v17
	v_mul_f16_sdwa v9, v60, v9 dst_sel:DWORD dst_unused:UNUSED_PAD src0_sel:WORD_1 src1_sel:DWORD
	v_lshlrev_b32_e32 v22, v22, v18
	v_cvt_f32_f16_e32 v11, v23
	v_lshl_or_b32 v15, v15, 9, 0x7c00
	v_cndmask_b32_e32 v23, 0x7c00, v10, vcc_lo
	v_fma_f16 v9, v60, v19, -v9
	v_cmp_ne_u32_e32 vcc_lo, v22, v21
	v_cvt_f64_f32_e32 v[10:11], v11
	v_lshrrev_b32_e32 v22, 8, v1
	v_add_nc_u32_e32 v19, 0xfffffc10, v24
	v_cvt_f32_f16_e32 v9, v9
	v_cndmask_b32_e64 v21, 0, 1, vcc_lo
	v_cmp_ne_u32_e32 vcc_lo, 0, v0
	v_lshrrev_b32_e32 v1, 16, v1
	v_or_b32_e32 v18, v18, v21
	v_cndmask_b32_e64 v0, 0, 1, vcc_lo
	v_cmp_eq_u32_e32 vcc_lo, 0x40f, v17
	v_lshl_or_b32 v21, v20, 12, v4
	v_and_or_b32 v0, 0xffe, v22, v0
	v_sub_nc_u32_e32 v22, 0x3f1, v24
	v_cndmask_b32_e32 v15, v23, v15, vcc_lo
	v_cmp_gt_i32_e32 vcc_lo, 1, v20
	v_cndmask_b32_e32 v17, v21, v18, vcc_lo
	v_or_b32_e32 v18, 0x1000, v0
	v_med3_i32 v21, v22, 0, 13
	v_and_or_b32 v22, 0x8000, v8, v7
	v_mul_f64 v[7:8], v[10:11], s[2:3]
	v_and_or_b32 v10, 0x8000, v16, v15
	v_and_b32_e32 v11, 7, v17
	v_lshrrev_b32_e32 v15, v21, v18
	v_and_b32_e32 v16, 0xffff, v22
	v_lshrrev_b32_e32 v22, 16, v12
	v_cmp_lt_i32_e32 vcc_lo, 5, v11
	v_lshlrev_b32_e32 v13, v21, v15
	v_cmp_eq_u32_e64 s0, 3, v11
	v_lshl_or_b32 v11, v10, 16, v16
	v_lshrrev_b32_e32 v16, 2, v17
	v_cvt_f64_f32_e32 v[9:10], v9
	v_cmp_ne_u32_e64 s1, v13, v18
	s_or_b32 vcc_lo, s0, vcc_lo
	v_add_co_ci_u32_e32 v16, vcc_lo, 0, v16, vcc_lo
	v_cndmask_b32_e64 v13, 0, 1, s1
	v_cmp_ne_u32_e32 vcc_lo, 0, v4
	v_and_or_b32 v7, 0x1ff, v8, v7
	v_or_b32_e32 v13, v15, v13
	v_lshl_or_b32 v15, v19, 12, v0
	v_cndmask_b32_e64 v4, 0, 1, vcc_lo
	v_cmp_gt_i32_e32 vcc_lo, 1, v19
	v_bfe_u32 v21, v8, 20, 11
	v_lshl_or_b32 v4, v4, 9, 0x7c00
	v_cndmask_b32_e32 v13, v15, v13, vcc_lo
	v_cmp_ne_u32_e32 vcc_lo, 0, v7
	v_lshrrev_b32_e32 v15, 8, v8
	v_mul_f64 v[9:10], v[9:10], s[2:3]
	v_and_b32_e32 v17, 7, v13
	v_cndmask_b32_e64 v7, 0, 1, vcc_lo
	v_cmp_gt_i32_e32 vcc_lo, 31, v20
	v_lshrrev_b32_e32 v13, 2, v13
	v_cmp_eq_u32_e64 s0, 3, v17
	v_and_or_b32 v7, 0xffe, v15, v7
	v_cndmask_b32_e32 v23, 0x7c00, v16, vcc_lo
	v_sub_nc_u32_e32 v15, 0x3f1, v21
	v_mul_f16_sdwa v16, v59, v22 dst_sel:DWORD dst_unused:UNUSED_PAD src0_sel:WORD_1 src1_sel:DWORD
	v_cmp_lt_i32_e32 vcc_lo, 5, v17
	v_or_b32_e32 v24, 0x1000, v7
	v_med3_i32 v15, v15, 0, 13
	v_fmac_f16_e32 v16, v59, v12
	s_or_b32 vcc_lo, s0, vcc_lo
	v_mul_f16_sdwa v12, v59, v12 dst_sel:DWORD dst_unused:UNUSED_PAD src0_sel:WORD_1 src1_sel:DWORD
	v_add_co_ci_u32_e32 v13, vcc_lo, 0, v13, vcc_lo
	v_add_co_u32 v17, vcc_lo, v2, s5
	v_lshrrev_b32_e32 v25, v15, v24
	v_cvt_f32_f16_e32 v16, v16
	v_add_co_ci_u32_e32 v18, vcc_lo, s4, v3, vcc_lo
	v_cmp_ne_u32_e32 vcc_lo, 0, v0
	v_lshlrev_b32_e32 v26, v15, v25
	v_cvt_f64_f32_e32 v[15:16], v16
	global_store_dword v[17:18], v11, off
	v_fma_f16 v11, v59, v22, -v12
	v_cndmask_b32_e64 v0, 0, 1, vcc_lo
	v_cmp_eq_u32_e32 vcc_lo, 0x40f, v20
	v_lshrrev_b32_e32 v20, 8, v10
	v_cvt_f32_f16_e32 v11, v11
	v_lshl_or_b32 v0, v0, 9, 0x7c00
	v_cndmask_b32_e32 v2, v23, v4, vcc_lo
	v_cmp_gt_i32_e32 vcc_lo, 31, v19
	v_and_or_b32 v4, 0x1ff, v10, v9
	v_cvt_f64_f32_e32 v[11:12], v11
	v_and_or_b32 v2, 0x8000, v5, v2
	v_cndmask_b32_e32 v3, 0x7c00, v13, vcc_lo
	v_cmp_ne_u32_e32 vcc_lo, v26, v24
	v_add_nc_u32_e32 v13, 0xfffffc10, v21
	v_bfe_u32 v21, v10, 20, 11
	v_and_b32_e32 v2, 0xffff, v2
	v_lshrrev_b32_e32 v10, 16, v10
	v_cndmask_b32_e64 v9, 0, 1, vcc_lo
	v_cmp_eq_u32_e32 vcc_lo, 0x40f, v19
	v_or_b32_e32 v9, v25, v9
	v_cndmask_b32_e32 v0, v3, v0, vcc_lo
	v_cmp_ne_u32_e32 vcc_lo, 0, v4
	v_mul_f64 v[3:4], v[15:16], s[2:3]
	v_lshl_or_b32 v15, v13, 12, v7
	v_sub_nc_u32_e32 v16, 0x3f1, v21
	v_and_or_b32 v0, 0x8000, v1, v0
	v_cndmask_b32_e64 v19, 0, 1, vcc_lo
	v_cmp_gt_i32_e32 vcc_lo, 1, v13
	v_mul_f64 v[11:12], v[11:12], s[2:3]
	v_med3_i32 v1, v16, 0, 13
	v_lshl_or_b32 v2, v0, 16, v2
	v_and_or_b32 v5, 0xffe, v20, v19
	v_cndmask_b32_e32 v9, v15, v9, vcc_lo
	v_add_co_u32 v0, s1, v17, s5
	v_add_nc_u32_e32 v20, 0xfffffc10, v21
	v_or_b32_e32 v15, 0x1000, v5
	v_and_b32_e32 v16, 7, v9
	v_lshrrev_b32_e32 v9, 2, v9
	v_lshrrev_b32_e32 v21, 16, v6
	v_lshrrev_b32_e32 v19, v1, v15
	v_cmp_lt_i32_e32 vcc_lo, 5, v16
	v_cmp_eq_u32_e64 s0, 3, v16
	v_and_or_b32 v3, 0x1ff, v4, v3
	v_lshrrev_b32_e32 v17, 8, v4
	v_lshlrev_b32_e32 v16, v1, v19
	v_add_co_ci_u32_e64 v1, s1, s4, v18, s1
	v_cmp_ne_u32_e64 s1, 0, v3
	v_bfe_u32 v18, v4, 20, 11
	s_or_b32 vcc_lo, s0, vcc_lo
	v_mul_f16_sdwa v22, v58, v21 dst_sel:DWORD dst_unused:UNUSED_PAD src0_sel:WORD_1 src1_sel:DWORD
	v_add_co_ci_u32_e32 v9, vcc_lo, 0, v9, vcc_lo
	v_cndmask_b32_e64 v3, 0, 1, s1
	v_cmp_ne_u32_e64 s1, v16, v15
	v_cmp_gt_i32_e32 vcc_lo, 1, v20
	v_sub_nc_u32_e32 v16, 0x3f1, v18
	v_fmac_f16_e32 v22, v58, v6
	v_and_or_b32 v3, 0xffe, v17, v3
	v_cndmask_b32_e64 v15, 0, 1, s1
	v_lshl_or_b32 v17, v20, 12, v5
	v_med3_i32 v16, v16, 0, 13
	v_cmp_eq_u32_e64 s1, 0x40f, v13
	v_add_nc_u32_e32 v18, 0xfffffc10, v18
	v_or_b32_e32 v15, v19, v15
	v_or_b32_e32 v19, 0x1000, v3
	v_and_or_b32 v11, 0x1ff, v12, v11
	v_mul_f16_sdwa v6, v58, v6 dst_sel:DWORD dst_unused:UNUSED_PAD src0_sel:WORD_1 src1_sel:DWORD
	v_cndmask_b32_e32 v15, v17, v15, vcc_lo
	v_cmp_ne_u32_e32 vcc_lo, 0, v7
	v_lshrrev_b32_e32 v17, v16, v19
	v_fma_f16 v6, v58, v21, -v6
	v_and_b32_e32 v23, 7, v15
	v_cndmask_b32_e64 v7, 0, 1, vcc_lo
	v_cmp_gt_i32_e32 vcc_lo, 31, v13
	v_lshlrev_b32_e32 v16, v16, v17
	v_lshrrev_b32_e32 v13, 2, v15
	v_cmp_eq_u32_e64 s0, 3, v23
	v_lshl_or_b32 v7, v7, 9, 0x7c00
	v_cndmask_b32_e32 v9, 0x7c00, v9, vcc_lo
	v_cmp_lt_i32_e32 vcc_lo, 5, v23
	v_cndmask_b32_e64 v9, v9, v7, s1
	v_cvt_f32_f16_e32 v7, v22
	v_cmp_ne_u32_e64 s1, v16, v19
	s_or_b32 vcc_lo, s0, vcc_lo
	v_cvt_f64_f32_e32 v[15:16], v7
	v_add_co_ci_u32_e32 v7, vcc_lo, 0, v13, vcc_lo
	v_cndmask_b32_e64 v19, 0, 1, s1
	v_cmp_ne_u32_e32 vcc_lo, 0, v5
	v_or_b32_e32 v13, v17, v19
	v_lshl_or_b32 v17, v18, 12, v3
	v_cndmask_b32_e64 v5, 0, 1, vcc_lo
	v_cmp_gt_i32_e32 vcc_lo, 1, v18
	v_lshrrev_b32_e32 v19, 16, v8
	v_lshl_or_b32 v5, v5, 9, 0x7c00
	v_cndmask_b32_e32 v13, v17, v13, vcc_lo
	v_cmp_ne_u32_e32 vcc_lo, 0, v11
	v_lshrrev_b32_e32 v11, 8, v12
	v_bfe_u32 v17, v12, 20, 11
	v_and_or_b32 v9, 0x8000, v19, v9
	v_and_b32_e32 v23, 7, v13
	v_cndmask_b32_e64 v8, 0, 1, vcc_lo
	v_cmp_gt_i32_e32 vcc_lo, 31, v20
	v_sub_nc_u32_e32 v24, 0x3f1, v17
	v_and_b32_e32 v9, 0xffff, v9
	v_cmp_eq_u32_e64 s0, 3, v23
	v_and_or_b32 v11, 0xffe, v11, v8
	v_cndmask_b32_e32 v22, 0x7c00, v7, vcc_lo
	v_cmp_eq_u32_e32 vcc_lo, 0x40f, v20
	v_mul_f64 v[7:8], v[15:16], s[2:3]
	v_med3_i32 v16, v24, 0, 13
	v_or_b32_e32 v15, 0x1000, v11
	v_lshrrev_b32_e32 v12, 16, v12
	v_cndmask_b32_e32 v5, v22, v5, vcc_lo
	v_cmp_lt_i32_e32 vcc_lo, 5, v23
	v_lshrrev_b32_e32 v19, v16, v15
	v_and_or_b32 v5, 0x8000, v10, v5
	v_lshrrev_b32_e32 v10, 2, v13
	s_or_b32 vcc_lo, s0, vcc_lo
	v_lshlrev_b32_e32 v13, v16, v19
	v_lshl_or_b32 v16, v5, 16, v9
	v_add_co_ci_u32_e32 v10, vcc_lo, 0, v10, vcc_lo
	v_cmp_ne_u32_e32 vcc_lo, 0, v3
	v_cvt_f32_f16_e32 v5, v6
	v_cndmask_b32_e64 v3, 0, 1, vcc_lo
	v_cmp_ne_u32_e32 vcc_lo, v13, v15
	v_and_or_b32 v7, 0x1ff, v8, v7
	v_add_nc_u32_e32 v15, 0xfffffc10, v17
	v_lshrrev_b32_e32 v17, 8, v8
	v_bfe_u32 v20, v8, 20, 11
	v_cndmask_b32_e64 v9, 0, 1, vcc_lo
	v_cmp_gt_i32_e32 vcc_lo, 31, v18
	v_cvt_f64_f32_e32 v[5:6], v5
	v_lshrrev_b32_e32 v13, 16, v14
	v_lshl_or_b32 v3, v3, 9, 0x7c00
	v_or_b32_e32 v9, v19, v9
	v_cndmask_b32_e32 v10, 0x7c00, v10, vcc_lo
	v_cmp_ne_u32_e32 vcc_lo, 0, v7
	v_lshl_or_b32 v19, v15, 12, v11
	v_mul_f16_sdwa v21, v57, v13 dst_sel:DWORD dst_unused:UNUSED_PAD src0_sel:WORD_1 src1_sel:DWORD
	v_lshrrev_b32_e32 v8, 16, v8
	v_cndmask_b32_e64 v7, 0, 1, vcc_lo
	v_cmp_gt_i32_e32 vcc_lo, 1, v15
	v_fmac_f16_e32 v21, v57, v14
	v_mul_f16_sdwa v14, v57, v14 dst_sel:DWORD dst_unused:UNUSED_PAD src0_sel:WORD_1 src1_sel:DWORD
	v_and_or_b32 v7, 0xffe, v17, v7
	v_sub_nc_u32_e32 v17, 0x3f1, v20
	v_cndmask_b32_e32 v19, v19, v9, vcc_lo
	v_cmp_eq_u32_e32 vcc_lo, 0x40f, v18
	v_cvt_f32_f16_e32 v9, v21
	v_or_b32_e32 v22, 0x1000, v7
	v_med3_i32 v17, v17, 0, 13
	v_and_b32_e32 v23, 7, v19
	v_cndmask_b32_e32 v18, v10, v3, vcc_lo
	v_lshrrev_b32_e32 v21, 16, v4
	v_lshrrev_b32_e32 v4, 2, v19
	;; [unrolled: 1-line block ×3, first 2 shown]
	v_cmp_lt_i32_e32 vcc_lo, 5, v23
	v_cmp_eq_u32_e64 s0, 3, v23
	v_cvt_f64_f32_e32 v[9:10], v9
	v_fma_f16 v13, v57, v13, -v14
	v_lshlrev_b32_e32 v17, v17, v3
	v_mul_f64 v[5:6], v[5:6], s[2:3]
	s_or_b32 vcc_lo, s0, vcc_lo
	v_and_or_b32 v18, 0x8000, v21, v18
	v_add_co_ci_u32_e32 v14, vcc_lo, 0, v4, vcc_lo
	v_cmp_ne_u32_e32 vcc_lo, v17, v22
	v_cvt_f32_f16_e32 v13, v13
	v_add_nc_u32_e32 v17, 0xfffffc10, v20
	v_and_b32_e32 v18, 0xffff, v18
	v_cndmask_b32_e64 v4, 0, 1, vcc_lo
	v_cmp_ne_u32_e32 vcc_lo, 0, v11
	v_lshl_or_b32 v20, v17, 12, v7
	v_or_b32_e32 v19, v3, v4
	v_cndmask_b32_e64 v11, 0, 1, vcc_lo
	v_cmp_gt_i32_e32 vcc_lo, 31, v15
	v_cvt_f64_f32_e32 v[3:4], v13
	v_mul_f64 v[9:10], v[9:10], s[2:3]
	v_lshl_or_b32 v11, v11, 9, 0x7c00
	v_cndmask_b32_e32 v22, 0x7c00, v14, vcc_lo
	v_add_co_u32 v13, vcc_lo, v0, s5
	v_add_co_ci_u32_e32 v14, vcc_lo, s4, v1, vcc_lo
	v_cmp_gt_i32_e32 vcc_lo, 1, v17
	v_and_or_b32 v5, 0x1ff, v6, v5
	v_cndmask_b32_e32 v19, v20, v19, vcc_lo
	v_cmp_eq_u32_e32 vcc_lo, 0x40f, v15
	v_lshrrev_b32_e32 v15, 8, v6
	v_bfe_u32 v20, v6, 20, 11
	v_lshrrev_b32_e32 v6, 16, v6
	v_cndmask_b32_e32 v11, v22, v11, vcc_lo
	v_cmp_ne_u32_e32 vcc_lo, 0, v5
	v_and_b32_e32 v22, 7, v19
	v_mul_f64 v[3:4], v[3:4], s[2:3]
	v_lshrrev_b32_e32 v19, 2, v19
	v_and_or_b32 v11, 0x8000, v12, v11
	v_cndmask_b32_e64 v5, 0, 1, vcc_lo
	v_cmp_lt_i32_e32 vcc_lo, 5, v22
	v_cmp_eq_u32_e64 s0, 3, v22
	v_and_or_b32 v9, 0x1ff, v10, v9
	v_lshrrev_b32_e32 v22, 8, v10
	v_and_or_b32 v5, 0xffe, v15, v5
	v_sub_nc_u32_e32 v15, 0x3f1, v20
	s_or_b32 vcc_lo, s0, vcc_lo
	v_bfe_u32 v23, v10, 20, 11
	v_add_co_ci_u32_e32 v19, vcc_lo, 0, v19, vcc_lo
	v_or_b32_e32 v12, 0x1000, v5
	v_med3_i32 v15, v15, 0, 13
	v_cmp_ne_u32_e32 vcc_lo, 0, v9
	v_lshrrev_b32_e32 v10, 16, v10
	v_lshl_or_b32 v11, v11, 16, v18
	v_lshrrev_b32_e32 v21, v15, v12
	v_cndmask_b32_e64 v9, 0, 1, vcc_lo
	v_cmp_ne_u32_e32 vcc_lo, 0, v7
	v_and_or_b32 v3, 0x1ff, v4, v3
	v_lshrrev_b32_e32 v24, 8, v4
	v_lshlrev_b32_e32 v15, v15, v21
	v_and_or_b32 v9, 0xffe, v22, v9
	v_cndmask_b32_e64 v7, 0, 1, vcc_lo
	v_sub_nc_u32_e32 v22, 0x3f1, v23
	v_bfe_u32 v25, v4, 20, 11
	v_cmp_ne_u32_e32 vcc_lo, v15, v12
	v_add_nc_u32_e32 v15, 0xfffffc10, v20
	v_or_b32_e32 v20, 0x1000, v9
	v_med3_i32 v22, v22, 0, 13
	v_lshl_or_b32 v7, v7, 9, 0x7c00
	v_cndmask_b32_e64 v12, 0, 1, vcc_lo
	v_cmp_gt_i32_e32 vcc_lo, 31, v17
	v_lshrrev_b32_e32 v26, v22, v20
	v_or_b32_e32 v12, v21, v12
	v_cndmask_b32_e32 v19, 0x7c00, v19, vcc_lo
	v_cmp_ne_u32_e32 vcc_lo, 0, v3
	v_lshl_or_b32 v21, v15, 12, v5
	v_cndmask_b32_e64 v3, 0, 1, vcc_lo
	v_cmp_gt_i32_e32 vcc_lo, 1, v15
	v_and_or_b32 v3, 0xffe, v24, v3
	v_sub_nc_u32_e32 v24, 0x3f1, v25
	v_cndmask_b32_e32 v12, v21, v12, vcc_lo
	v_lshlrev_b32_e32 v21, v22, v26
	v_cmp_eq_u32_e32 vcc_lo, 0x40f, v17
	v_or_b32_e32 v22, 0x1000, v3
	v_med3_i32 v24, v24, 0, 13
	v_and_b32_e32 v27, 7, v12
	v_lshrrev_b32_e32 v12, 2, v12
	v_cndmask_b32_e32 v7, v19, v7, vcc_lo
	v_cmp_ne_u32_e32 vcc_lo, v21, v20
	v_add_nc_u32_e32 v19, 0xfffffc10, v23
	v_lshrrev_b32_e32 v20, v24, v22
	v_cmp_eq_u32_e64 s0, 3, v27
	v_and_or_b32 v7, 0x8000, v8, v7
	v_cndmask_b32_e64 v17, 0, 1, vcc_lo
	v_lshl_or_b32 v21, v19, 12, v9
	v_lshlrev_b32_e32 v23, v24, v20
	v_cmp_gt_i32_e64 s1, 1, v19
	v_cmp_lt_i32_e32 vcc_lo, 5, v27
	v_or_b32_e32 v17, v26, v17
	s_or_b32 vcc_lo, s0, vcc_lo
	v_cndmask_b32_e64 v17, v21, v17, s1
	v_cmp_ne_u32_e64 s1, v23, v22
	v_add_nc_u32_e32 v22, 0xfffffc10, v25
	v_add_co_ci_u32_e32 v12, vcc_lo, 0, v12, vcc_lo
	v_and_b32_e32 v23, 7, v17
	v_cndmask_b32_e64 v21, 0, 1, s1
	v_cmp_ne_u32_e32 vcc_lo, 0, v5
	v_cmp_gt_i32_e64 s0, 1, v22
	v_lshrrev_b32_e32 v17, 2, v17
	v_cmp_gt_i32_e64 s1, 31, v15
	v_or_b32_e32 v20, v20, v21
	v_lshl_or_b32 v21, v22, 12, v3
	v_cndmask_b32_e64 v5, 0, 1, vcc_lo
	v_cmp_lt_i32_e32 vcc_lo, 5, v23
	v_cndmask_b32_e64 v12, 0x7c00, v12, s1
	v_cmp_eq_u32_e64 s1, 0x40f, v15
	v_cndmask_b32_e64 v8, v21, v20, s0
	v_cmp_eq_u32_e64 s0, 3, v23
	v_lshl_or_b32 v5, v5, 9, 0x7c00
	v_and_b32_e32 v20, 7, v8
	s_or_b32 vcc_lo, s0, vcc_lo
	v_lshrrev_b32_e32 v8, 2, v8
	v_add_co_ci_u32_e32 v17, vcc_lo, 0, v17, vcc_lo
	v_cmp_ne_u32_e32 vcc_lo, 0, v9
	v_cmp_eq_u32_e64 s0, 3, v20
	v_cndmask_b32_e64 v5, v12, v5, s1
	v_cmp_gt_i32_e64 s1, 31, v19
	v_cndmask_b32_e64 v9, 0, 1, vcc_lo
	v_cmp_lt_i32_e32 vcc_lo, 5, v20
	v_and_or_b32 v5, 0x8000, v6, v5
	v_cndmask_b32_e64 v12, 0x7c00, v17, s1
	v_and_b32_e32 v6, 0xffff, v7
	v_lshl_or_b32 v9, v9, 9, 0x7c00
	s_or_b32 vcc_lo, s0, vcc_lo
	v_add_co_ci_u32_e32 v8, vcc_lo, 0, v8, vcc_lo
	v_cmp_ne_u32_e32 vcc_lo, 0, v3
	v_cndmask_b32_e64 v3, 0, 1, vcc_lo
	v_cmp_eq_u32_e32 vcc_lo, 0x40f, v19
	v_lshl_or_b32 v3, v3, 9, 0x7c00
	v_cndmask_b32_e32 v9, v12, v9, vcc_lo
	v_cmp_gt_i32_e32 vcc_lo, 31, v22
	v_and_or_b32 v7, 0x8000, v10, v9
	v_cndmask_b32_e32 v8, 0x7c00, v8, vcc_lo
	v_cmp_eq_u32_e32 vcc_lo, 0x40f, v22
	v_lshrrev_b32_e32 v9, 16, v4
	v_lshl_or_b32 v10, v5, 16, v6
	v_and_b32_e32 v7, 0xffff, v7
	v_cndmask_b32_e32 v8, v8, v3, vcc_lo
	v_add_co_u32 v3, vcc_lo, v13, s5
	v_add_co_ci_u32_e32 v4, vcc_lo, s4, v14, vcc_lo
	v_and_or_b32 v8, 0x8000, v9, v8
	v_add_co_u32 v5, vcc_lo, v3, s5
	v_add_co_ci_u32_e32 v6, vcc_lo, s4, v4, vcc_lo
	v_lshl_or_b32 v9, v8, 16, v7
	v_add_co_u32 v7, vcc_lo, v5, s5
	v_add_co_ci_u32_e32 v8, vcc_lo, s4, v6, vcc_lo
	global_store_dword v[0:1], v2, off
	global_store_dword v[13:14], v16, off
	;; [unrolled: 1-line block ×5, first 2 shown]
.LBB0_2:
	s_endpgm
	.section	.rodata,"a",@progbits
	.p2align	6, 0x0
	.amdhsa_kernel bluestein_single_fwd_len3200_dim1_half_op_CI_CI
		.amdhsa_group_segment_fixed_size 12800
		.amdhsa_private_segment_fixed_size 0
		.amdhsa_kernarg_size 104
		.amdhsa_user_sgpr_count 6
		.amdhsa_user_sgpr_private_segment_buffer 1
		.amdhsa_user_sgpr_dispatch_ptr 0
		.amdhsa_user_sgpr_queue_ptr 0
		.amdhsa_user_sgpr_kernarg_segment_ptr 1
		.amdhsa_user_sgpr_dispatch_id 0
		.amdhsa_user_sgpr_flat_scratch_init 0
		.amdhsa_user_sgpr_private_segment_size 0
		.amdhsa_wavefront_size32 1
		.amdhsa_uses_dynamic_stack 0
		.amdhsa_system_sgpr_private_segment_wavefront_offset 0
		.amdhsa_system_sgpr_workgroup_id_x 1
		.amdhsa_system_sgpr_workgroup_id_y 0
		.amdhsa_system_sgpr_workgroup_id_z 0
		.amdhsa_system_sgpr_workgroup_info 0
		.amdhsa_system_vgpr_workitem_id 0
		.amdhsa_next_free_vgpr 188
		.amdhsa_next_free_sgpr 20
		.amdhsa_reserve_vcc 1
		.amdhsa_reserve_flat_scratch 0
		.amdhsa_float_round_mode_32 0
		.amdhsa_float_round_mode_16_64 0
		.amdhsa_float_denorm_mode_32 3
		.amdhsa_float_denorm_mode_16_64 3
		.amdhsa_dx10_clamp 1
		.amdhsa_ieee_mode 1
		.amdhsa_fp16_overflow 0
		.amdhsa_workgroup_processor_mode 1
		.amdhsa_memory_ordered 1
		.amdhsa_forward_progress 0
		.amdhsa_shared_vgpr_count 0
		.amdhsa_exception_fp_ieee_invalid_op 0
		.amdhsa_exception_fp_denorm_src 0
		.amdhsa_exception_fp_ieee_div_zero 0
		.amdhsa_exception_fp_ieee_overflow 0
		.amdhsa_exception_fp_ieee_underflow 0
		.amdhsa_exception_fp_ieee_inexact 0
		.amdhsa_exception_int_div_zero 0
	.end_amdhsa_kernel
	.text
.Lfunc_end0:
	.size	bluestein_single_fwd_len3200_dim1_half_op_CI_CI, .Lfunc_end0-bluestein_single_fwd_len3200_dim1_half_op_CI_CI
                                        ; -- End function
	.section	.AMDGPU.csdata,"",@progbits
; Kernel info:
; codeLenInByte = 32964
; NumSgprs: 22
; NumVgprs: 188
; ScratchSize: 0
; MemoryBound: 0
; FloatMode: 240
; IeeeMode: 1
; LDSByteSize: 12800 bytes/workgroup (compile time only)
; SGPRBlocks: 2
; VGPRBlocks: 23
; NumSGPRsForWavesPerEU: 22
; NumVGPRsForWavesPerEU: 188
; Occupancy: 5
; WaveLimiterHint : 1
; COMPUTE_PGM_RSRC2:SCRATCH_EN: 0
; COMPUTE_PGM_RSRC2:USER_SGPR: 6
; COMPUTE_PGM_RSRC2:TRAP_HANDLER: 0
; COMPUTE_PGM_RSRC2:TGID_X_EN: 1
; COMPUTE_PGM_RSRC2:TGID_Y_EN: 0
; COMPUTE_PGM_RSRC2:TGID_Z_EN: 0
; COMPUTE_PGM_RSRC2:TIDIG_COMP_CNT: 0
	.text
	.p2alignl 6, 3214868480
	.fill 48, 4, 3214868480
	.type	__hip_cuid_7cdf8313bb10dfc4,@object ; @__hip_cuid_7cdf8313bb10dfc4
	.section	.bss,"aw",@nobits
	.globl	__hip_cuid_7cdf8313bb10dfc4
__hip_cuid_7cdf8313bb10dfc4:
	.byte	0                               ; 0x0
	.size	__hip_cuid_7cdf8313bb10dfc4, 1

	.ident	"AMD clang version 19.0.0git (https://github.com/RadeonOpenCompute/llvm-project roc-6.4.0 25133 c7fe45cf4b819c5991fe208aaa96edf142730f1d)"
	.section	".note.GNU-stack","",@progbits
	.addrsig
	.addrsig_sym __hip_cuid_7cdf8313bb10dfc4
	.amdgpu_metadata
---
amdhsa.kernels:
  - .args:
      - .actual_access:  read_only
        .address_space:  global
        .offset:         0
        .size:           8
        .value_kind:     global_buffer
      - .actual_access:  read_only
        .address_space:  global
        .offset:         8
        .size:           8
        .value_kind:     global_buffer
      - .actual_access:  read_only
        .address_space:  global
        .offset:         16
        .size:           8
        .value_kind:     global_buffer
      - .actual_access:  read_only
        .address_space:  global
        .offset:         24
        .size:           8
        .value_kind:     global_buffer
      - .actual_access:  read_only
        .address_space:  global
        .offset:         32
        .size:           8
        .value_kind:     global_buffer
      - .offset:         40
        .size:           8
        .value_kind:     by_value
      - .address_space:  global
        .offset:         48
        .size:           8
        .value_kind:     global_buffer
      - .address_space:  global
        .offset:         56
        .size:           8
        .value_kind:     global_buffer
      - .address_space:  global
        .offset:         64
        .size:           8
        .value_kind:     global_buffer
      - .address_space:  global
        .offset:         72
        .size:           8
        .value_kind:     global_buffer
      - .offset:         80
        .size:           4
        .value_kind:     by_value
      - .address_space:  global
        .offset:         88
        .size:           8
        .value_kind:     global_buffer
      - .address_space:  global
        .offset:         96
        .size:           8
        .value_kind:     global_buffer
    .group_segment_fixed_size: 12800
    .kernarg_segment_align: 8
    .kernarg_segment_size: 104
    .language:       OpenCL C
    .language_version:
      - 2
      - 0
    .max_flat_workgroup_size: 160
    .name:           bluestein_single_fwd_len3200_dim1_half_op_CI_CI
    .private_segment_fixed_size: 0
    .sgpr_count:     22
    .sgpr_spill_count: 0
    .symbol:         bluestein_single_fwd_len3200_dim1_half_op_CI_CI.kd
    .uniform_work_group_size: 1
    .uses_dynamic_stack: false
    .vgpr_count:     188
    .vgpr_spill_count: 0
    .wavefront_size: 32
    .workgroup_processor_mode: 1
amdhsa.target:   amdgcn-amd-amdhsa--gfx1030
amdhsa.version:
  - 1
  - 2
...

	.end_amdgpu_metadata
